;; amdgpu-corpus repo=ROCm/rocFFT kind=compiled arch=gfx1100 opt=O3
	.text
	.amdgcn_target "amdgcn-amd-amdhsa--gfx1100"
	.amdhsa_code_object_version 6
	.protected	fft_rtc_back_len1248_factors_2_2_13_2_3_2_2_wgs_52_tpt_52_halfLds_dp_op_CI_CI_unitstride_sbrr_C2R_dirReg ; -- Begin function fft_rtc_back_len1248_factors_2_2_13_2_3_2_2_wgs_52_tpt_52_halfLds_dp_op_CI_CI_unitstride_sbrr_C2R_dirReg
	.globl	fft_rtc_back_len1248_factors_2_2_13_2_3_2_2_wgs_52_tpt_52_halfLds_dp_op_CI_CI_unitstride_sbrr_C2R_dirReg
	.p2align	8
	.type	fft_rtc_back_len1248_factors_2_2_13_2_3_2_2_wgs_52_tpt_52_halfLds_dp_op_CI_CI_unitstride_sbrr_C2R_dirReg,@function
fft_rtc_back_len1248_factors_2_2_13_2_3_2_2_wgs_52_tpt_52_halfLds_dp_op_CI_CI_unitstride_sbrr_C2R_dirReg: ; @fft_rtc_back_len1248_factors_2_2_13_2_3_2_2_wgs_52_tpt_52_halfLds_dp_op_CI_CI_unitstride_sbrr_C2R_dirReg
; %bb.0:
	s_clause 0x2
	s_load_b128 s[8:11], s[0:1], 0x0
	s_load_b128 s[4:7], s[0:1], 0x58
	;; [unrolled: 1-line block ×3, first 2 shown]
	v_mul_u32_u24_e32 v1, 0x4ed, v0
	v_mov_b32_e32 v3, 0
	s_delay_alu instid0(VALU_DEP_2) | instskip(NEXT) | instid1(VALU_DEP_1)
	v_lshrrev_b32_e32 v1, 16, v1
	v_add_nc_u32_e32 v5, s15, v1
	v_mov_b32_e32 v1, 0
	v_mov_b32_e32 v2, 0
	;; [unrolled: 1-line block ×3, first 2 shown]
	s_waitcnt lgkmcnt(0)
	v_cmp_lt_u64_e64 s2, s[10:11], 2
	s_delay_alu instid0(VALU_DEP_1)
	s_and_b32 vcc_lo, exec_lo, s2
	s_cbranch_vccnz .LBB0_8
; %bb.1:
	s_load_b64 s[2:3], s[0:1], 0x10
	v_mov_b32_e32 v1, 0
	v_mov_b32_e32 v2, 0
	s_add_u32 s12, s18, 8
	s_addc_u32 s13, s19, 0
	s_add_u32 s14, s16, 8
	s_addc_u32 s15, s17, 0
	v_dual_mov_b32 v117, v2 :: v_dual_mov_b32 v116, v1
	s_mov_b64 s[22:23], 1
	s_waitcnt lgkmcnt(0)
	s_add_u32 s20, s2, 8
	s_addc_u32 s21, s3, 0
.LBB0_2:                                ; =>This Inner Loop Header: Depth=1
	s_load_b64 s[24:25], s[20:21], 0x0
                                        ; implicit-def: $vgpr120_vgpr121
	s_mov_b32 s2, exec_lo
	s_waitcnt lgkmcnt(0)
	v_or_b32_e32 v4, s25, v6
	s_delay_alu instid0(VALU_DEP_1)
	v_cmpx_ne_u64_e32 0, v[3:4]
	s_xor_b32 s3, exec_lo, s2
	s_cbranch_execz .LBB0_4
; %bb.3:                                ;   in Loop: Header=BB0_2 Depth=1
	v_cvt_f32_u32_e32 v4, s24
	v_cvt_f32_u32_e32 v7, s25
	s_sub_u32 s2, 0, s24
	s_subb_u32 s26, 0, s25
	s_delay_alu instid0(VALU_DEP_1) | instskip(NEXT) | instid1(VALU_DEP_1)
	v_fmac_f32_e32 v4, 0x4f800000, v7
	v_rcp_f32_e32 v4, v4
	s_waitcnt_depctr 0xfff
	v_mul_f32_e32 v4, 0x5f7ffffc, v4
	s_delay_alu instid0(VALU_DEP_1) | instskip(NEXT) | instid1(VALU_DEP_1)
	v_mul_f32_e32 v7, 0x2f800000, v4
	v_trunc_f32_e32 v7, v7
	s_delay_alu instid0(VALU_DEP_1) | instskip(SKIP_1) | instid1(VALU_DEP_2)
	v_fmac_f32_e32 v4, 0xcf800000, v7
	v_cvt_u32_f32_e32 v7, v7
	v_cvt_u32_f32_e32 v4, v4
	s_delay_alu instid0(VALU_DEP_2) | instskip(NEXT) | instid1(VALU_DEP_2)
	v_mul_lo_u32 v8, s2, v7
	v_mul_hi_u32 v9, s2, v4
	v_mul_lo_u32 v10, s26, v4
	s_delay_alu instid0(VALU_DEP_2) | instskip(SKIP_1) | instid1(VALU_DEP_2)
	v_add_nc_u32_e32 v8, v9, v8
	v_mul_lo_u32 v9, s2, v4
	v_add_nc_u32_e32 v8, v8, v10
	s_delay_alu instid0(VALU_DEP_2) | instskip(NEXT) | instid1(VALU_DEP_2)
	v_mul_hi_u32 v10, v4, v9
	v_mul_lo_u32 v11, v4, v8
	v_mul_hi_u32 v12, v4, v8
	v_mul_hi_u32 v13, v7, v9
	v_mul_lo_u32 v9, v7, v9
	v_mul_hi_u32 v14, v7, v8
	v_mul_lo_u32 v8, v7, v8
	v_add_co_u32 v10, vcc_lo, v10, v11
	v_add_co_ci_u32_e32 v11, vcc_lo, 0, v12, vcc_lo
	s_delay_alu instid0(VALU_DEP_2) | instskip(NEXT) | instid1(VALU_DEP_2)
	v_add_co_u32 v9, vcc_lo, v10, v9
	v_add_co_ci_u32_e32 v9, vcc_lo, v11, v13, vcc_lo
	v_add_co_ci_u32_e32 v10, vcc_lo, 0, v14, vcc_lo
	s_delay_alu instid0(VALU_DEP_2) | instskip(NEXT) | instid1(VALU_DEP_2)
	v_add_co_u32 v8, vcc_lo, v9, v8
	v_add_co_ci_u32_e32 v9, vcc_lo, 0, v10, vcc_lo
	s_delay_alu instid0(VALU_DEP_2) | instskip(NEXT) | instid1(VALU_DEP_2)
	v_add_co_u32 v4, vcc_lo, v4, v8
	v_add_co_ci_u32_e32 v7, vcc_lo, v7, v9, vcc_lo
	s_delay_alu instid0(VALU_DEP_2) | instskip(SKIP_1) | instid1(VALU_DEP_3)
	v_mul_hi_u32 v8, s2, v4
	v_mul_lo_u32 v10, s26, v4
	v_mul_lo_u32 v9, s2, v7
	s_delay_alu instid0(VALU_DEP_1) | instskip(SKIP_1) | instid1(VALU_DEP_2)
	v_add_nc_u32_e32 v8, v8, v9
	v_mul_lo_u32 v9, s2, v4
	v_add_nc_u32_e32 v8, v8, v10
	s_delay_alu instid0(VALU_DEP_2) | instskip(NEXT) | instid1(VALU_DEP_2)
	v_mul_hi_u32 v10, v4, v9
	v_mul_lo_u32 v11, v4, v8
	v_mul_hi_u32 v12, v4, v8
	v_mul_hi_u32 v13, v7, v9
	v_mul_lo_u32 v9, v7, v9
	v_mul_hi_u32 v14, v7, v8
	v_mul_lo_u32 v8, v7, v8
	v_add_co_u32 v10, vcc_lo, v10, v11
	v_add_co_ci_u32_e32 v11, vcc_lo, 0, v12, vcc_lo
	s_delay_alu instid0(VALU_DEP_2) | instskip(NEXT) | instid1(VALU_DEP_2)
	v_add_co_u32 v9, vcc_lo, v10, v9
	v_add_co_ci_u32_e32 v9, vcc_lo, v11, v13, vcc_lo
	v_add_co_ci_u32_e32 v10, vcc_lo, 0, v14, vcc_lo
	s_delay_alu instid0(VALU_DEP_2) | instskip(NEXT) | instid1(VALU_DEP_2)
	v_add_co_u32 v8, vcc_lo, v9, v8
	v_add_co_ci_u32_e32 v9, vcc_lo, 0, v10, vcc_lo
	s_delay_alu instid0(VALU_DEP_2) | instskip(NEXT) | instid1(VALU_DEP_2)
	v_add_co_u32 v4, vcc_lo, v4, v8
	v_add_co_ci_u32_e32 v13, vcc_lo, v7, v9, vcc_lo
	s_delay_alu instid0(VALU_DEP_2) | instskip(SKIP_1) | instid1(VALU_DEP_3)
	v_mul_hi_u32 v14, v5, v4
	v_mad_u64_u32 v[9:10], null, v6, v4, 0
	v_mad_u64_u32 v[7:8], null, v5, v13, 0
	;; [unrolled: 1-line block ×3, first 2 shown]
	s_delay_alu instid0(VALU_DEP_2) | instskip(NEXT) | instid1(VALU_DEP_3)
	v_add_co_u32 v4, vcc_lo, v14, v7
	v_add_co_ci_u32_e32 v7, vcc_lo, 0, v8, vcc_lo
	s_delay_alu instid0(VALU_DEP_2) | instskip(NEXT) | instid1(VALU_DEP_2)
	v_add_co_u32 v4, vcc_lo, v4, v9
	v_add_co_ci_u32_e32 v4, vcc_lo, v7, v10, vcc_lo
	v_add_co_ci_u32_e32 v7, vcc_lo, 0, v12, vcc_lo
	s_delay_alu instid0(VALU_DEP_2) | instskip(NEXT) | instid1(VALU_DEP_2)
	v_add_co_u32 v4, vcc_lo, v4, v11
	v_add_co_ci_u32_e32 v9, vcc_lo, 0, v7, vcc_lo
	s_delay_alu instid0(VALU_DEP_2) | instskip(SKIP_1) | instid1(VALU_DEP_3)
	v_mul_lo_u32 v10, s25, v4
	v_mad_u64_u32 v[7:8], null, s24, v4, 0
	v_mul_lo_u32 v11, s24, v9
	s_delay_alu instid0(VALU_DEP_2) | instskip(NEXT) | instid1(VALU_DEP_2)
	v_sub_co_u32 v7, vcc_lo, v5, v7
	v_add3_u32 v8, v8, v11, v10
	s_delay_alu instid0(VALU_DEP_1) | instskip(NEXT) | instid1(VALU_DEP_1)
	v_sub_nc_u32_e32 v10, v6, v8
	v_subrev_co_ci_u32_e64 v10, s2, s25, v10, vcc_lo
	v_add_co_u32 v11, s2, v4, 2
	s_delay_alu instid0(VALU_DEP_1) | instskip(SKIP_3) | instid1(VALU_DEP_3)
	v_add_co_ci_u32_e64 v12, s2, 0, v9, s2
	v_sub_co_u32 v13, s2, v7, s24
	v_sub_co_ci_u32_e32 v8, vcc_lo, v6, v8, vcc_lo
	v_subrev_co_ci_u32_e64 v10, s2, 0, v10, s2
	v_cmp_le_u32_e32 vcc_lo, s24, v13
	s_delay_alu instid0(VALU_DEP_3) | instskip(SKIP_1) | instid1(VALU_DEP_4)
	v_cmp_eq_u32_e64 s2, s25, v8
	v_cndmask_b32_e64 v13, 0, -1, vcc_lo
	v_cmp_le_u32_e32 vcc_lo, s25, v10
	v_cndmask_b32_e64 v14, 0, -1, vcc_lo
	v_cmp_le_u32_e32 vcc_lo, s24, v7
	;; [unrolled: 2-line block ×3, first 2 shown]
	v_cndmask_b32_e64 v15, 0, -1, vcc_lo
	v_cmp_eq_u32_e32 vcc_lo, s25, v10
	s_delay_alu instid0(VALU_DEP_2) | instskip(SKIP_3) | instid1(VALU_DEP_3)
	v_cndmask_b32_e64 v7, v15, v7, s2
	v_cndmask_b32_e32 v10, v14, v13, vcc_lo
	v_add_co_u32 v13, vcc_lo, v4, 1
	v_add_co_ci_u32_e32 v14, vcc_lo, 0, v9, vcc_lo
	v_cmp_ne_u32_e32 vcc_lo, 0, v10
	s_delay_alu instid0(VALU_DEP_2) | instskip(NEXT) | instid1(VALU_DEP_4)
	v_cndmask_b32_e32 v8, v14, v12, vcc_lo
	v_cndmask_b32_e32 v10, v13, v11, vcc_lo
	v_cmp_ne_u32_e32 vcc_lo, 0, v7
	s_delay_alu instid0(VALU_DEP_2)
	v_dual_cndmask_b32 v121, v9, v8 :: v_dual_cndmask_b32 v120, v4, v10
.LBB0_4:                                ;   in Loop: Header=BB0_2 Depth=1
	s_and_not1_saveexec_b32 s2, s3
	s_cbranch_execz .LBB0_6
; %bb.5:                                ;   in Loop: Header=BB0_2 Depth=1
	v_cvt_f32_u32_e32 v4, s24
	s_sub_i32 s3, 0, s24
	v_mov_b32_e32 v121, v3
	s_delay_alu instid0(VALU_DEP_2) | instskip(SKIP_2) | instid1(VALU_DEP_1)
	v_rcp_iflag_f32_e32 v4, v4
	s_waitcnt_depctr 0xfff
	v_mul_f32_e32 v4, 0x4f7ffffe, v4
	v_cvt_u32_f32_e32 v4, v4
	s_delay_alu instid0(VALU_DEP_1) | instskip(NEXT) | instid1(VALU_DEP_1)
	v_mul_lo_u32 v7, s3, v4
	v_mul_hi_u32 v7, v4, v7
	s_delay_alu instid0(VALU_DEP_1) | instskip(NEXT) | instid1(VALU_DEP_1)
	v_add_nc_u32_e32 v4, v4, v7
	v_mul_hi_u32 v4, v5, v4
	s_delay_alu instid0(VALU_DEP_1) | instskip(SKIP_1) | instid1(VALU_DEP_2)
	v_mul_lo_u32 v7, v4, s24
	v_add_nc_u32_e32 v8, 1, v4
	v_sub_nc_u32_e32 v7, v5, v7
	s_delay_alu instid0(VALU_DEP_1) | instskip(SKIP_1) | instid1(VALU_DEP_2)
	v_subrev_nc_u32_e32 v9, s24, v7
	v_cmp_le_u32_e32 vcc_lo, s24, v7
	v_dual_cndmask_b32 v7, v7, v9 :: v_dual_cndmask_b32 v4, v4, v8
	s_delay_alu instid0(VALU_DEP_1) | instskip(NEXT) | instid1(VALU_DEP_2)
	v_cmp_le_u32_e32 vcc_lo, s24, v7
	v_add_nc_u32_e32 v8, 1, v4
	s_delay_alu instid0(VALU_DEP_1)
	v_cndmask_b32_e32 v120, v4, v8, vcc_lo
.LBB0_6:                                ;   in Loop: Header=BB0_2 Depth=1
	s_or_b32 exec_lo, exec_lo, s2
	s_delay_alu instid0(VALU_DEP_1) | instskip(NEXT) | instid1(VALU_DEP_2)
	v_mul_lo_u32 v4, v121, s24
	v_mul_lo_u32 v9, v120, s25
	s_load_b64 s[2:3], s[14:15], 0x0
	v_mad_u64_u32 v[7:8], null, v120, s24, 0
	s_load_b64 s[24:25], s[12:13], 0x0
	s_add_u32 s22, s22, 1
	s_addc_u32 s23, s23, 0
	s_add_u32 s12, s12, 8
	s_addc_u32 s13, s13, 0
	s_add_u32 s14, s14, 8
	s_delay_alu instid0(VALU_DEP_1) | instskip(SKIP_3) | instid1(VALU_DEP_2)
	v_add3_u32 v4, v8, v9, v4
	v_sub_co_u32 v8, vcc_lo, v5, v7
	s_addc_u32 s15, s15, 0
	s_add_u32 s20, s20, 8
	v_sub_co_ci_u32_e32 v6, vcc_lo, v6, v4, vcc_lo
	s_addc_u32 s21, s21, 0
	s_waitcnt lgkmcnt(0)
	s_delay_alu instid0(VALU_DEP_1)
	v_mul_lo_u32 v9, s2, v6
	v_mul_lo_u32 v10, s3, v8
	v_mad_u64_u32 v[4:5], null, s2, v8, v[1:2]
	v_mul_lo_u32 v11, s24, v6
	v_mul_lo_u32 v12, s25, v8
	v_mad_u64_u32 v[6:7], null, s24, v8, v[116:117]
	v_cmp_ge_u64_e64 s2, s[22:23], s[10:11]
	v_add3_u32 v2, v10, v5, v9
	s_delay_alu instid0(VALU_DEP_3) | instskip(NEXT) | instid1(VALU_DEP_4)
	v_dual_mov_b32 v1, v4 :: v_dual_mov_b32 v116, v6
	v_add3_u32 v117, v12, v7, v11
	s_delay_alu instid0(VALU_DEP_4)
	s_and_b32 vcc_lo, exec_lo, s2
	s_cbranch_vccnz .LBB0_9
; %bb.7:                                ;   in Loop: Header=BB0_2 Depth=1
	v_dual_mov_b32 v5, v120 :: v_dual_mov_b32 v6, v121
	s_branch .LBB0_2
.LBB0_8:
	v_dual_mov_b32 v117, v2 :: v_dual_mov_b32 v116, v1
	v_dual_mov_b32 v121, v6 :: v_dual_mov_b32 v120, v5
.LBB0_9:
	s_load_b64 s[0:1], s[0:1], 0x28
	v_mul_hi_u32 v3, 0x4ec4ec5, v0
	s_lshl_b64 s[10:11], s[10:11], 3
                                        ; implicit-def: $vgpr118
                                        ; implicit-def: $vgpr4_vgpr5
	s_delay_alu instid0(SALU_CYCLE_1) | instskip(SKIP_4) | instid1(VALU_DEP_1)
	s_add_u32 s2, s18, s10
	s_addc_u32 s3, s19, s11
	s_waitcnt lgkmcnt(0)
	v_cmp_gt_u64_e32 vcc_lo, s[0:1], v[120:121]
	v_cmp_le_u64_e64 s0, s[0:1], v[120:121]
	s_and_saveexec_b32 s1, s0
	s_delay_alu instid0(SALU_CYCLE_1)
	s_xor_b32 s0, exec_lo, s1
; %bb.10:
	v_mul_u32_u24_e32 v1, 52, v3
	v_mov_b32_e32 v119, 0
                                        ; implicit-def: $vgpr3
	s_delay_alu instid0(VALU_DEP_2) | instskip(NEXT) | instid1(VALU_DEP_1)
	v_sub_nc_u32_e32 v118, v0, v1
                                        ; implicit-def: $vgpr0
                                        ; implicit-def: $vgpr1_vgpr2
	v_dual_mov_b32 v4, v118 :: v_dual_mov_b32 v5, v119
; %bb.11:
	s_or_saveexec_b32 s1, s0
	s_load_b64 s[2:3], s[2:3], 0x0
	s_xor_b32 exec_lo, exec_lo, s1
	s_cbranch_execz .LBB0_15
; %bb.12:
	s_add_u32 s10, s16, s10
	s_addc_u32 s11, s17, s11
	v_lshlrev_b64 v[1:2], 4, v[1:2]
	s_load_b64 s[10:11], s[10:11], 0x0
	v_mov_b32_e32 v119, 0
	s_waitcnt lgkmcnt(0)
	v_mul_lo_u32 v6, s11, v120
	v_mul_lo_u32 v7, s10, v121
	v_mad_u64_u32 v[4:5], null, s10, v120, 0
	s_delay_alu instid0(VALU_DEP_1) | instskip(SKIP_1) | instid1(VALU_DEP_2)
	v_add3_u32 v5, v5, v7, v6
	v_mul_u32_u24_e32 v6, 52, v3
	v_lshlrev_b64 v[3:4], 4, v[4:5]
	s_delay_alu instid0(VALU_DEP_2) | instskip(NEXT) | instid1(VALU_DEP_1)
	v_sub_nc_u32_e32 v118, v0, v6
	v_lshlrev_b32_e32 v102, 4, v118
	s_delay_alu instid0(VALU_DEP_3) | instskip(NEXT) | instid1(VALU_DEP_1)
	v_add_co_u32 v0, s0, s4, v3
	v_add_co_ci_u32_e64 v3, s0, s5, v4, s0
	s_delay_alu instid0(VALU_DEP_3) | instskip(NEXT) | instid1(VALU_DEP_3)
	v_or_b32_e32 v4, 0x3400, v102
	v_add_co_u32 v0, s0, v0, v1
	s_delay_alu instid0(VALU_DEP_1) | instskip(NEXT) | instid1(VALU_DEP_2)
	v_add_co_ci_u32_e64 v1, s0, v3, v2, s0
	v_add_co_u32 v2, s0, v0, v102
	s_delay_alu instid0(VALU_DEP_1) | instskip(SKIP_1) | instid1(VALU_DEP_1)
	v_add_co_ci_u32_e64 v3, s0, 0, v1, s0
	v_add_co_u32 v4, s0, v0, v4
	v_add_co_ci_u32_e64 v5, s0, 0, v1, s0
	s_delay_alu instid0(VALU_DEP_4) | instskip(NEXT) | instid1(VALU_DEP_1)
	v_add_co_u32 v42, s0, 0x1000, v2
	v_add_co_ci_u32_e64 v43, s0, 0, v3, s0
	v_add_co_u32 v62, s0, 0x2000, v2
	s_delay_alu instid0(VALU_DEP_1) | instskip(SKIP_1) | instid1(VALU_DEP_1)
	v_add_co_ci_u32_e64 v63, s0, 0, v3, s0
	v_add_co_u32 v82, s0, 0x3000, v2
	v_add_co_ci_u32_e64 v83, s0, 0, v3, s0
	v_add_co_u32 v98, s0, 0x4000, v2
	s_delay_alu instid0(VALU_DEP_1)
	v_add_co_ci_u32_e64 v99, s0, 0, v3, s0
	s_clause 0x17
	global_load_b128 v[6:9], v[2:3], off
	global_load_b128 v[10:13], v[2:3], off offset:832
	global_load_b128 v[14:17], v[2:3], off offset:1664
	;; [unrolled: 1-line block ×15, first 2 shown]
	global_load_b128 v[70:73], v[4:5], off
	global_load_b128 v[74:77], v[82:83], off offset:1856
	global_load_b128 v[78:81], v[82:83], off offset:2688
	;; [unrolled: 1-line block ×7, first 2 shown]
	v_mov_b32_e32 v4, v118
	v_dual_mov_b32 v5, v119 :: v_dual_add_nc_u32 v2, 0, v102
	v_cmp_eq_u32_e64 s0, 51, v118
	s_waitcnt vmcnt(23)
	ds_store_b128 v2, v[6:9]
	s_waitcnt vmcnt(22)
	ds_store_b128 v2, v[10:13] offset:832
	s_waitcnt vmcnt(21)
	ds_store_b128 v2, v[14:17] offset:1664
	;; [unrolled: 2-line block ×23, first 2 shown]
	s_and_saveexec_b32 s4, s0
	s_cbranch_execz .LBB0_14
; %bb.13:
	v_add_co_u32 v0, s0, 0x4000, v0
	s_delay_alu instid0(VALU_DEP_1)
	v_add_co_ci_u32_e64 v1, s0, 0, v1, s0
	v_mov_b32_e32 v4, 51
	v_dual_mov_b32 v5, 0 :: v_dual_mov_b32 v118, 51
	global_load_b128 v[0:3], v[0:1], off offset:3584
	s_waitcnt vmcnt(0)
	ds_store_b128 v119, v[0:3] offset:19968
.LBB0_14:
	s_or_b32 exec_lo, exec_lo, s4
.LBB0_15:
	s_delay_alu instid0(SALU_CYCLE_1)
	s_or_b32 exec_lo, exec_lo, s1
	v_lshlrev_b32_e32 v0, 4, v118
	s_waitcnt lgkmcnt(0)
	s_barrier
	buffer_gl0_inv
	v_lshlrev_b64 v[4:5], 4, v[4:5]
	v_add_nc_u32_e32 v252, 0, v0
	v_sub_nc_u32_e32 v10, 0, v0
	s_add_u32 s1, s8, 0x4de0
	s_addc_u32 s4, s9, 0
	s_mov_b32 s5, exec_lo
	ds_load_b64 v[6:7], v252
	ds_load_b64 v[8:9], v10 offset:19968
	scratch_store_b64 off, v[4:5], off      ; 8-byte Folded Spill
	s_waitcnt lgkmcnt(0)
	v_add_f64 v[0:1], v[6:7], v[8:9]
	v_add_f64 v[2:3], v[6:7], -v[8:9]
	v_cmpx_ne_u32_e32 0, v118
	s_xor_b32 s5, exec_lo, s5
	s_cbranch_execz .LBB0_17
; %bb.16:
	scratch_load_b64 v[0:1], off, off       ; 8-byte Folded Reload
	v_add_f64 v[13:14], v[6:7], v[8:9]
	v_add_f64 v[8:9], v[6:7], -v[8:9]
	s_waitcnt vmcnt(0)
	v_add_co_u32 v0, s0, s1, v0
	s_delay_alu instid0(VALU_DEP_1)
	v_add_co_ci_u32_e64 v1, s0, s4, v1, s0
	global_load_b128 v[2:5], v[0:1], off
	ds_load_b64 v[0:1], v10 offset:19976
	ds_load_b64 v[11:12], v252 offset:8
	s_waitcnt lgkmcnt(0)
	v_add_f64 v[6:7], v[0:1], v[11:12]
	v_add_f64 v[0:1], v[11:12], -v[0:1]
	s_waitcnt vmcnt(0)
	v_fma_f64 v[11:12], v[8:9], v[4:5], v[13:14]
	v_fma_f64 v[13:14], -v[8:9], v[4:5], v[13:14]
	s_delay_alu instid0(VALU_DEP_3) | instskip(SKIP_1) | instid1(VALU_DEP_4)
	v_fma_f64 v[15:16], v[6:7], v[4:5], -v[0:1]
	v_fma_f64 v[17:18], v[6:7], v[4:5], v[0:1]
	v_fma_f64 v[0:1], -v[6:7], v[2:3], v[11:12]
	s_delay_alu instid0(VALU_DEP_4) | instskip(NEXT) | instid1(VALU_DEP_4)
	v_fma_f64 v[4:5], v[6:7], v[2:3], v[13:14]
	v_fma_f64 v[6:7], v[8:9], v[2:3], v[15:16]
	s_delay_alu instid0(VALU_DEP_4)
	v_fma_f64 v[2:3], v[8:9], v[2:3], v[17:18]
	ds_store_b128 v10, v[4:7] offset:19968
.LBB0_17:
	s_and_not1_saveexec_b32 s0, s5
	s_cbranch_execz .LBB0_19
; %bb.18:
	v_mov_b32_e32 v8, 0
	ds_load_b128 v[4:7], v8 offset:9984
	s_waitcnt lgkmcnt(0)
	v_add_f64 v[4:5], v[4:5], v[4:5]
	v_mul_f64 v[6:7], v[6:7], -2.0
	ds_store_b128 v8, v[4:7] offset:9984
.LBB0_19:
	s_or_b32 exec_lo, exec_lo, s0
	v_dual_mov_b32 v119, 0 :: v_dual_add_nc_u32 v110, 0x9c, v118
	v_add_nc_u32_e32 v111, 52, v118
	v_add_nc_u32_e32 v255, 0x68, v118
	;; [unrolled: 1-line block ×3, first 2 shown]
	s_delay_alu instid0(VALU_DEP_4)
	v_lshlrev_b64 v[5:6], 4, v[118:119]
	v_add_nc_u32_e32 v136, 0x138, v118
	v_add_nc_u32_e32 v137, 0x16c, v118
	;; [unrolled: 1-line block ×5, first 2 shown]
	v_add_co_u32 v4, s0, s1, v5
	scratch_store_b64 off, v[5:6], off offset:8 ; 8-byte Folded Spill
	v_add_co_ci_u32_e64 v5, s0, s4, v6, s0
	v_add_nc_u32_e32 v141, 0x23c, v118
	v_lshlrev_b32_e32 v142, 1, v111
	s_clause 0x1
	global_load_b128 v[6:9], v[4:5], off offset:832
	global_load_b128 v[11:14], v[4:5], off offset:1664
	ds_store_b128 v252, v[0:3]
	ds_load_b128 v[0:3], v252 offset:832
	ds_load_b128 v[15:18], v10 offset:19136
	global_load_b128 v[19:22], v[4:5], off offset:2496
	v_add_nc_u32_e32 v134, 0xd0, v118
	v_lshl_add_u32 v100, v110, 5, 0
	v_lshl_add_u32 v102, v135, 5, 0
	;; [unrolled: 1-line block ×9, first 2 shown]
	v_lshlrev_b32_e32 v127, 1, v110
	v_lshlrev_b32_e32 v124, 1, v118
	;; [unrolled: 1-line block ×7, first 2 shown]
	s_waitcnt lgkmcnt(0)
	v_add_f64 v[23:24], v[0:1], v[15:16]
	v_add_f64 v[25:26], v[17:18], v[2:3]
	v_add_f64 v[27:28], v[0:1], -v[15:16]
	v_add_f64 v[0:1], v[2:3], -v[17:18]
	s_waitcnt vmcnt(2)
	s_delay_alu instid0(VALU_DEP_2) | instskip(NEXT) | instid1(VALU_DEP_2)
	v_fma_f64 v[2:3], v[27:28], v[8:9], v[23:24]
	v_fma_f64 v[15:16], v[25:26], v[8:9], v[0:1]
	v_fma_f64 v[17:18], -v[27:28], v[8:9], v[23:24]
	v_fma_f64 v[8:9], v[25:26], v[8:9], -v[0:1]
	s_delay_alu instid0(VALU_DEP_4) | instskip(NEXT) | instid1(VALU_DEP_4)
	v_fma_f64 v[0:1], -v[25:26], v[6:7], v[2:3]
	v_fma_f64 v[2:3], v[27:28], v[6:7], v[15:16]
	s_delay_alu instid0(VALU_DEP_4) | instskip(NEXT) | instid1(VALU_DEP_4)
	v_fma_f64 v[15:16], v[25:26], v[6:7], v[17:18]
	v_fma_f64 v[17:18], v[27:28], v[6:7], v[8:9]
	ds_store_b128 v252, v[0:3] offset:832
	ds_store_b128 v10, v[15:18] offset:19136
	ds_load_b128 v[0:3], v252 offset:1664
	ds_load_b128 v[6:9], v10 offset:18304
	global_load_b128 v[15:18], v[4:5], off offset:3328
	s_waitcnt lgkmcnt(0)
	v_add_f64 v[23:24], v[0:1], v[6:7]
	v_add_f64 v[25:26], v[8:9], v[2:3]
	v_add_f64 v[27:28], v[0:1], -v[6:7]
	v_add_f64 v[0:1], v[2:3], -v[8:9]
	s_waitcnt vmcnt(2)
	s_delay_alu instid0(VALU_DEP_2) | instskip(NEXT) | instid1(VALU_DEP_2)
	v_fma_f64 v[2:3], v[27:28], v[13:14], v[23:24]
	v_fma_f64 v[6:7], v[25:26], v[13:14], v[0:1]
	v_fma_f64 v[8:9], -v[27:28], v[13:14], v[23:24]
	v_fma_f64 v[13:14], v[25:26], v[13:14], -v[0:1]
	v_add_co_u32 v23, s0, 0x1000, v4
	s_delay_alu instid0(VALU_DEP_1)
	v_add_co_ci_u32_e64 v24, s0, 0, v5, s0
	v_fma_f64 v[0:1], -v[25:26], v[11:12], v[2:3]
	v_fma_f64 v[2:3], v[27:28], v[11:12], v[6:7]
	v_fma_f64 v[6:7], v[25:26], v[11:12], v[8:9]
	;; [unrolled: 1-line block ×3, first 2 shown]
	ds_store_b128 v252, v[0:3] offset:1664
	ds_store_b128 v10, v[6:9] offset:18304
	ds_load_b128 v[0:3], v252 offset:2496
	ds_load_b128 v[6:9], v10 offset:17472
	global_load_b128 v[11:14], v[23:24], off offset:64
	s_waitcnt lgkmcnt(0)
	v_add_f64 v[25:26], v[0:1], v[6:7]
	v_add_f64 v[27:28], v[8:9], v[2:3]
	v_add_f64 v[29:30], v[0:1], -v[6:7]
	v_add_f64 v[0:1], v[2:3], -v[8:9]
	s_waitcnt vmcnt(2)
	s_delay_alu instid0(VALU_DEP_2) | instskip(NEXT) | instid1(VALU_DEP_2)
	v_fma_f64 v[2:3], v[29:30], v[21:22], v[25:26]
	v_fma_f64 v[6:7], v[27:28], v[21:22], v[0:1]
	v_fma_f64 v[8:9], -v[29:30], v[21:22], v[25:26]
	v_fma_f64 v[21:22], v[27:28], v[21:22], -v[0:1]
	s_delay_alu instid0(VALU_DEP_4) | instskip(NEXT) | instid1(VALU_DEP_4)
	v_fma_f64 v[0:1], -v[27:28], v[19:20], v[2:3]
	v_fma_f64 v[2:3], v[29:30], v[19:20], v[6:7]
	s_delay_alu instid0(VALU_DEP_4) | instskip(NEXT) | instid1(VALU_DEP_4)
	v_fma_f64 v[6:7], v[27:28], v[19:20], v[8:9]
	v_fma_f64 v[8:9], v[29:30], v[19:20], v[21:22]
	ds_store_b128 v252, v[0:3] offset:2496
	ds_store_b128 v10, v[6:9] offset:17472
	ds_load_b128 v[0:3], v252 offset:3328
	ds_load_b128 v[6:9], v10 offset:16640
	global_load_b128 v[19:22], v[23:24], off offset:896
	s_waitcnt lgkmcnt(0)
	v_add_f64 v[25:26], v[0:1], v[6:7]
	v_add_f64 v[27:28], v[8:9], v[2:3]
	v_add_f64 v[29:30], v[0:1], -v[6:7]
	v_add_f64 v[0:1], v[2:3], -v[8:9]
	s_waitcnt vmcnt(2)
	s_delay_alu instid0(VALU_DEP_2) | instskip(NEXT) | instid1(VALU_DEP_2)
	v_fma_f64 v[2:3], v[29:30], v[17:18], v[25:26]
	v_fma_f64 v[6:7], v[27:28], v[17:18], v[0:1]
	v_fma_f64 v[8:9], -v[29:30], v[17:18], v[25:26]
	v_fma_f64 v[17:18], v[27:28], v[17:18], -v[0:1]
	s_delay_alu instid0(VALU_DEP_4) | instskip(NEXT) | instid1(VALU_DEP_4)
	v_fma_f64 v[0:1], -v[27:28], v[15:16], v[2:3]
	v_fma_f64 v[2:3], v[29:30], v[15:16], v[6:7]
	s_delay_alu instid0(VALU_DEP_4) | instskip(NEXT) | instid1(VALU_DEP_4)
	v_fma_f64 v[6:7], v[27:28], v[15:16], v[8:9]
	v_fma_f64 v[8:9], v[29:30], v[15:16], v[17:18]
	;; [unrolled: 22-line block ×4, first 2 shown]
	ds_store_b128 v252, v[0:3] offset:4992
	ds_store_b128 v10, v[6:9] offset:14976
	ds_load_b128 v[0:3], v252 offset:5824
	ds_load_b128 v[6:9], v10 offset:14144
	global_load_b128 v[19:22], v[23:24], off offset:3392
	s_waitcnt lgkmcnt(0)
	v_add_f64 v[23:24], v[0:1], v[6:7]
	v_add_f64 v[25:26], v[8:9], v[2:3]
	v_add_f64 v[27:28], v[0:1], -v[6:7]
	v_add_f64 v[0:1], v[2:3], -v[8:9]
	s_waitcnt vmcnt(2)
	s_delay_alu instid0(VALU_DEP_2) | instskip(NEXT) | instid1(VALU_DEP_2)
	v_fma_f64 v[2:3], v[27:28], v[17:18], v[23:24]
	v_fma_f64 v[6:7], v[25:26], v[17:18], v[0:1]
	v_fma_f64 v[8:9], -v[27:28], v[17:18], v[23:24]
	v_fma_f64 v[17:18], v[25:26], v[17:18], -v[0:1]
	v_add_co_u32 v23, s0, 0x2000, v4
	s_delay_alu instid0(VALU_DEP_1)
	v_add_co_ci_u32_e64 v24, s0, 0, v5, s0
	v_cmp_gt_u32_e64 s0, 44, v118
	v_fma_f64 v[0:1], -v[25:26], v[15:16], v[2:3]
	v_fma_f64 v[2:3], v[27:28], v[15:16], v[6:7]
	v_fma_f64 v[6:7], v[25:26], v[15:16], v[8:9]
	;; [unrolled: 1-line block ×3, first 2 shown]
	ds_store_b128 v252, v[0:3] offset:5824
	ds_store_b128 v10, v[6:9] offset:14144
	ds_load_b128 v[0:3], v252 offset:6656
	ds_load_b128 v[6:9], v10 offset:13312
	global_load_b128 v[15:18], v[23:24], off offset:128
	s_waitcnt lgkmcnt(0)
	v_add_f64 v[4:5], v[0:1], v[6:7]
	v_add_f64 v[25:26], v[8:9], v[2:3]
	v_add_f64 v[6:7], v[0:1], -v[6:7]
	v_add_f64 v[0:1], v[2:3], -v[8:9]
	s_waitcnt vmcnt(2)
	s_delay_alu instid0(VALU_DEP_2) | instskip(NEXT) | instid1(VALU_DEP_2)
	v_fma_f64 v[2:3], v[6:7], v[13:14], v[4:5]
	v_fma_f64 v[8:9], v[25:26], v[13:14], v[0:1]
	v_fma_f64 v[4:5], -v[6:7], v[13:14], v[4:5]
	v_fma_f64 v[13:14], v[25:26], v[13:14], -v[0:1]
	s_delay_alu instid0(VALU_DEP_4) | instskip(NEXT) | instid1(VALU_DEP_4)
	v_fma_f64 v[0:1], -v[25:26], v[11:12], v[2:3]
	v_fma_f64 v[2:3], v[6:7], v[11:12], v[8:9]
	s_delay_alu instid0(VALU_DEP_4) | instskip(NEXT) | instid1(VALU_DEP_4)
	v_fma_f64 v[4:5], v[25:26], v[11:12], v[4:5]
	v_fma_f64 v[6:7], v[6:7], v[11:12], v[13:14]
	ds_store_b128 v252, v[0:3] offset:6656
	ds_store_b128 v10, v[4:7] offset:13312
	ds_load_b128 v[0:3], v252 offset:7488
	ds_load_b128 v[4:7], v10 offset:12480
	global_load_b128 v[11:14], v[23:24], off offset:960
	s_waitcnt lgkmcnt(0)
	v_add_f64 v[8:9], v[0:1], v[4:5]
	v_add_f64 v[23:24], v[6:7], v[2:3]
	v_add_f64 v[25:26], v[0:1], -v[4:5]
	v_add_f64 v[0:1], v[2:3], -v[6:7]
	s_waitcnt vmcnt(2)
	s_delay_alu instid0(VALU_DEP_2) | instskip(NEXT) | instid1(VALU_DEP_2)
	v_fma_f64 v[2:3], v[25:26], v[21:22], v[8:9]
	v_fma_f64 v[4:5], v[23:24], v[21:22], v[0:1]
	v_fma_f64 v[6:7], -v[25:26], v[21:22], v[8:9]
	v_fma_f64 v[8:9], v[23:24], v[21:22], -v[0:1]
	s_delay_alu instid0(VALU_DEP_4) | instskip(NEXT) | instid1(VALU_DEP_4)
	v_fma_f64 v[0:1], -v[23:24], v[19:20], v[2:3]
	v_fma_f64 v[2:3], v[25:26], v[19:20], v[4:5]
	s_delay_alu instid0(VALU_DEP_4) | instskip(NEXT) | instid1(VALU_DEP_4)
	v_fma_f64 v[4:5], v[23:24], v[19:20], v[6:7]
	v_fma_f64 v[6:7], v[25:26], v[19:20], v[8:9]
	ds_store_b128 v252, v[0:3] offset:7488
	ds_store_b128 v10, v[4:7] offset:12480
	ds_load_b128 v[0:3], v252 offset:8320
	ds_load_b128 v[4:7], v10 offset:11648
	s_waitcnt lgkmcnt(0)
	v_add_f64 v[8:9], v[0:1], v[4:5]
	v_add_f64 v[19:20], v[6:7], v[2:3]
	v_add_f64 v[21:22], v[0:1], -v[4:5]
	v_add_f64 v[0:1], v[2:3], -v[6:7]
	s_waitcnt vmcnt(1)
	s_delay_alu instid0(VALU_DEP_2) | instskip(NEXT) | instid1(VALU_DEP_2)
	v_fma_f64 v[2:3], v[21:22], v[17:18], v[8:9]
	v_fma_f64 v[4:5], v[19:20], v[17:18], v[0:1]
	v_fma_f64 v[6:7], -v[21:22], v[17:18], v[8:9]
	v_fma_f64 v[8:9], v[19:20], v[17:18], -v[0:1]
	s_delay_alu instid0(VALU_DEP_4) | instskip(NEXT) | instid1(VALU_DEP_4)
	v_fma_f64 v[0:1], -v[19:20], v[15:16], v[2:3]
	v_fma_f64 v[2:3], v[21:22], v[15:16], v[4:5]
	s_delay_alu instid0(VALU_DEP_4) | instskip(NEXT) | instid1(VALU_DEP_4)
	v_fma_f64 v[4:5], v[19:20], v[15:16], v[6:7]
	v_fma_f64 v[6:7], v[21:22], v[15:16], v[8:9]
	ds_store_b128 v252, v[0:3] offset:8320
	ds_store_b128 v10, v[4:7] offset:11648
	ds_load_b128 v[0:3], v252 offset:9152
	ds_load_b128 v[4:7], v10 offset:10816
	s_waitcnt lgkmcnt(0)
	v_add_f64 v[8:9], v[0:1], v[4:5]
	v_add_f64 v[15:16], v[6:7], v[2:3]
	v_add_f64 v[17:18], v[0:1], -v[4:5]
	v_add_f64 v[0:1], v[2:3], -v[6:7]
	s_waitcnt vmcnt(0)
	s_delay_alu instid0(VALU_DEP_2) | instskip(NEXT) | instid1(VALU_DEP_2)
	v_fma_f64 v[2:3], v[17:18], v[13:14], v[8:9]
	v_fma_f64 v[4:5], v[15:16], v[13:14], v[0:1]
	v_fma_f64 v[6:7], -v[17:18], v[13:14], v[8:9]
	v_fma_f64 v[8:9], v[15:16], v[13:14], -v[0:1]
	s_delay_alu instid0(VALU_DEP_4) | instskip(NEXT) | instid1(VALU_DEP_4)
	v_fma_f64 v[0:1], -v[15:16], v[11:12], v[2:3]
	v_fma_f64 v[2:3], v[17:18], v[11:12], v[4:5]
	s_delay_alu instid0(VALU_DEP_4) | instskip(NEXT) | instid1(VALU_DEP_4)
	v_fma_f64 v[4:5], v[15:16], v[11:12], v[6:7]
	v_fma_f64 v[6:7], v[17:18], v[11:12], v[8:9]
	ds_store_b128 v252, v[0:3] offset:9152
	ds_store_b128 v10, v[4:7] offset:10816
	s_waitcnt lgkmcnt(0)
	s_waitcnt_vscnt null, 0x0
	s_barrier
	buffer_gl0_inv
	s_barrier
	buffer_gl0_inv
	ds_load_b128 v[0:3], v252
	ds_load_b128 v[4:7], v252 offset:832
	ds_load_b128 v[8:11], v252 offset:9984
	;; [unrolled: 1-line block ×23, first 2 shown]
	s_waitcnt lgkmcnt(21)
	v_add_f64 v[8:9], v[0:1], -v[8:9]
	v_add_f64 v[10:11], v[2:3], -v[10:11]
	s_waitcnt lgkmcnt(20)
	v_add_f64 v[96:97], v[4:5], -v[52:53]
	v_add_f64 v[98:99], v[6:7], -v[54:55]
	;; [unrolled: 3-line block ×12, first 2 shown]
	v_and_b32_e32 v52, 1, v118
	v_lshl_add_u32 v93, v118, 5, 0
	v_lshl_add_u32 v94, v111, 5, 0
	;; [unrolled: 1-line block ×3, first 2 shown]
	s_delay_alu instid0(VALU_DEP_4)
	v_lshlrev_b32_e32 v109, 4, v52
	s_barrier
	buffer_gl0_inv
	v_and_or_b32 v115, 0x7c, v124, v52
	v_fma_f64 v[0:1], v[0:1], 2.0, -v[8:9]
	v_fma_f64 v[2:3], v[2:3], 2.0, -v[10:11]
	;; [unrolled: 1-line block ×24, first 2 shown]
	ds_store_b128 v93, v[0:3]
	ds_store_b128 v93, v[8:11] offset:16
	ds_store_b128 v94, v[4:7]
	ds_store_b128 v94, v[96:99] offset:16
	;; [unrolled: 2-line block ×12, first 2 shown]
	s_waitcnt lgkmcnt(0)
	s_barrier
	buffer_gl0_inv
	global_load_b128 v[0:3], v109, s[8:9]
	ds_load_b128 v[4:7], v252 offset:9984
	ds_load_b128 v[8:11], v252 offset:10816
	;; [unrolled: 1-line block ×12, first 2 shown]
	ds_load_b128 v[53:56], v252
	ds_load_b128 v[57:60], v252 offset:832
	s_waitcnt vmcnt(0) lgkmcnt(13)
	v_mul_f64 v[61:62], v[6:7], v[2:3]
	v_mul_f64 v[63:64], v[4:5], v[2:3]
	s_waitcnt lgkmcnt(12)
	v_mul_f64 v[65:66], v[10:11], v[2:3]
	v_mul_f64 v[67:68], v[8:9], v[2:3]
	s_waitcnt lgkmcnt(11)
	;; [unrolled: 3-line block ×11, first 2 shown]
	v_mul_f64 v[105:106], v[50:51], v[2:3]
	v_mul_f64 v[2:3], v[48:49], v[2:3]
	v_fma_f64 v[4:5], v[4:5], v[0:1], v[61:62]
	v_fma_f64 v[6:7], v[6:7], v[0:1], -v[63:64]
	v_fma_f64 v[8:9], v[8:9], v[0:1], v[65:66]
	v_fma_f64 v[10:11], v[10:11], v[0:1], -v[67:68]
	;; [unrolled: 2-line block ×12, first 2 shown]
	ds_load_b128 v[24:27], v252 offset:1664
	ds_load_b128 v[28:31], v252 offset:2496
	;; [unrolled: 1-line block ×10, first 2 shown]
	s_waitcnt lgkmcnt(11)
	v_add_f64 v[73:74], v[53:54], -v[4:5]
	v_add_f64 v[75:76], v[55:56], -v[6:7]
	s_waitcnt lgkmcnt(10)
	v_add_f64 v[77:78], v[57:58], -v[8:9]
	v_add_f64 v[79:80], v[59:60], -v[10:11]
	v_lshlrev_b32_e32 v4, 1, v140
	v_lshlrev_b32_e32 v5, 1, v139
	s_waitcnt lgkmcnt(9)
	v_add_f64 v[81:82], v[24:25], -v[12:13]
	v_add_f64 v[83:84], v[26:27], -v[14:15]
	s_waitcnt lgkmcnt(8)
	v_add_f64 v[85:86], v[28:29], -v[16:17]
	v_add_f64 v[87:88], v[30:31], -v[18:19]
	;; [unrolled: 3-line block ×10, first 2 shown]
	v_dual_mov_b32 v97, v142 :: v_dual_lshlrev_b32 v6, 1, v141
	v_lshlrev_b32_e32 v134, 1, v134
	v_and_or_b32 v125, 0x3fc, v137, v52
	v_and_or_b32 v126, 0x3fc, v138, v52
	scratch_store_b64 off, v[97:98], off offset:16 ; 8-byte Folded Spill
	v_and_or_b32 v4, 0x7fc, v4, v52
	v_and_or_b32 v5, 0x4fc, v5, v52
	v_and_or_b32 v6, 0x4fc, v6, v52
	v_and_or_b32 v113, 0xfc, v142, v52
	v_and_or_b32 v114, 0x1fc, v119, v52
	v_lshl_add_u32 v7, v115, 4, 0
	v_fma_f64 v[53:54], v[53:54], 2.0, -v[73:74]
	v_fma_f64 v[55:56], v[55:56], 2.0, -v[75:76]
	;; [unrolled: 1-line block ×4, first 2 shown]
	v_and_or_b32 v115, 0x1fc, v127, v52
	v_and_or_b32 v119, 0x3fc, v134, v52
	v_fma_f64 v[97:98], v[24:25], 2.0, -v[81:82]
	v_fma_f64 v[99:100], v[26:27], 2.0, -v[83:84]
	;; [unrolled: 1-line block ×20, first 2 shown]
	v_and_or_b32 v122, 0x2fc, v135, v52
	v_and_or_b32 v123, 0x2fc, v136, v52
	v_lshl_add_u32 v30, v125, 4, 0
	v_lshl_add_u32 v31, v126, 4, 0
	;; [unrolled: 1-line block ×11, first 2 shown]
	s_waitcnt_vscnt null, 0x0
	s_barrier
	buffer_gl0_inv
	ds_store_b128 v7, v[53:56]
	ds_store_b128 v7, v[73:76] offset:32
	ds_store_b128 v24, v[57:60]
	ds_store_b128 v24, v[77:80] offset:32
	;; [unrolled: 2-line block ×7, first 2 shown]
	scratch_store_b128 off, v[32:35], off offset:24 ; 16-byte Folded Spill
	ds_store_b128 v30, v[32:35]
	ds_store_b128 v30, v[172:175] offset:32
	scratch_store_b128 off, v[36:39], off offset:40 ; 16-byte Folded Spill
	ds_store_b128 v31, v[36:39]
	ds_store_b128 v31, v[8:11] offset:32
	;; [unrolled: 3-line block ×5, first 2 shown]
	s_waitcnt lgkmcnt(0)
	s_waitcnt_vscnt null, 0x0
	s_barrier
	buffer_gl0_inv
	ds_load_b128 v[100:103], v252
	ds_load_b128 v[56:59], v252 offset:1536
	ds_load_b128 v[68:71], v252 offset:3072
	;; [unrolled: 1-line block ×12, first 2 shown]
                                        ; implicit-def: $vgpr4_vgpr5
	s_clause 0x1
	scratch_store_b128 off, v[2:5], off offset:120
	; meta instruction
	scratch_store_b128 off, v[2:5], off offset:104
	s_and_saveexec_b32 s1, s0
	s_cbranch_execz .LBB0_21
; %bb.20:
	ds_load_b128 v[0:3], v252 offset:832
	ds_load_b128 v[4:7], v252 offset:2368
	s_waitcnt lgkmcnt(0)
	scratch_store_b128 off, v[4:7], off offset:24 ; 16-byte Folded Spill
	ds_load_b128 v[172:175], v252 offset:3904
	ds_load_b128 v[4:7], v252 offset:5440
	s_waitcnt lgkmcnt(0)
	scratch_store_b128 off, v[4:7], off offset:40 ; 16-byte Folded Spill
	;; [unrolled: 4-line block ×6, first 2 shown]
	ds_load_b128 v[4:7], v252 offset:19264
	s_waitcnt lgkmcnt(0)
	scratch_store_b128 off, v[4:7], off offset:120 ; 16-byte Folded Spill
.LBB0_21:
	s_or_b32 exec_lo, exec_lo, s1
	v_and_b32_e32 v119, 3, v118
	s_mov_b32 s22, 0x2ef20147
	s_mov_b32 s23, 0xbfedeba7
	;; [unrolled: 1-line block ×4, first 2 shown]
	v_mul_u32_u24_e32 v4, 12, v119
	s_mov_b32 s14, 0xb2365da1
	s_mov_b32 s45, 0xbfddbe06
	;; [unrolled: 1-line block ×4, first 2 shown]
	v_lshlrev_b32_e32 v4, 4, v4
	s_mov_b32 s28, 0xe00740e9
	s_mov_b32 s16, 0xebaa3ed8
	;; [unrolled: 1-line block ×4, first 2 shown]
	s_clause 0x1
	global_load_b128 v[52:55], v4, s[8:9] offset:32
	global_load_b128 v[60:63], v4, s[8:9] offset:48
	s_mov_b32 s26, 0x42a4c3d2
	s_mov_b32 s20, 0x24c2f84
	;; [unrolled: 1-line block ×24, first 2 shown]
	s_waitcnt vmcnt(1) lgkmcnt(11)
	v_mul_f64 v[44:45], v[56:57], v[54:55]
	v_mul_f64 v[46:47], v[58:59], v[54:55]
	s_delay_alu instid0(VALU_DEP_2) | instskip(NEXT) | instid1(VALU_DEP_2)
	v_fma_f64 v[44:45], v[58:59], v[52:53], -v[44:45]
	v_fma_f64 v[46:47], v[56:57], v[52:53], v[46:47]
	s_clause 0x1
	global_load_b128 v[56:59], v4, s[8:9] offset:208
	global_load_b128 v[64:67], v4, s[8:9] offset:192
	s_waitcnt vmcnt(1) lgkmcnt(0)
	v_mul_f64 v[122:123], v[72:73], v[58:59]
	s_delay_alu instid0(VALU_DEP_1) | instskip(SKIP_1) | instid1(VALU_DEP_1)
	v_fma_f64 v[5:6], v[74:75], v[56:57], -v[122:123]
	v_mul_f64 v[74:75], v[74:75], v[58:59]
	v_fma_f64 v[24:25], v[72:73], v[56:57], v[74:75]
	v_mul_f64 v[72:73], v[70:71], v[62:63]
	s_delay_alu instid0(VALU_DEP_2) | instskip(NEXT) | instid1(VALU_DEP_2)
	v_add_f64 v[168:169], v[46:47], v[24:25]
	v_fma_f64 v[26:27], v[68:69], v[60:61], v[72:73]
	v_mul_f64 v[68:69], v[68:69], v[62:63]
	v_add_f64 v[190:191], v[46:47], -v[24:25]
	s_delay_alu instid0(VALU_DEP_2)
	v_fma_f64 v[28:29], v[70:71], v[60:61], -v[68:69]
	s_clause 0x1
	global_load_b128 v[68:71], v4, s[8:9] offset:64
	global_load_b128 v[72:75], v4, s[8:9] offset:80
	s_waitcnt vmcnt(1)
	v_mul_f64 v[122:123], v[94:95], v[70:71]
	s_delay_alu instid0(VALU_DEP_1) | instskip(SKIP_1) | instid1(VALU_DEP_1)
	v_fma_f64 v[30:31], v[92:93], v[68:69], v[122:123]
	v_mul_f64 v[92:93], v[92:93], v[70:71]
	v_fma_f64 v[32:33], v[94:95], v[68:69], -v[92:93]
	s_waitcnt vmcnt(0)
	v_mul_f64 v[92:93], v[86:87], v[74:75]
	s_delay_alu instid0(VALU_DEP_1) | instskip(SKIP_1) | instid1(VALU_DEP_1)
	v_fma_f64 v[34:35], v[84:85], v[72:73], v[92:93]
	v_mul_f64 v[84:85], v[84:85], v[74:75]
	v_fma_f64 v[36:37], v[86:87], v[72:73], -v[84:85]
	s_clause 0x1
	global_load_b128 v[84:87], v4, s[8:9] offset:96
	global_load_b128 v[92:95], v4, s[8:9] offset:112
	s_waitcnt vmcnt(1)
	v_mul_f64 v[122:123], v[98:99], v[86:87]
	s_delay_alu instid0(VALU_DEP_1) | instskip(SKIP_1) | instid1(VALU_DEP_1)
	v_fma_f64 v[38:39], v[96:97], v[84:85], v[122:123]
	v_mul_f64 v[96:97], v[96:97], v[86:87]
	v_fma_f64 v[40:41], v[98:99], v[84:85], -v[96:97]
	s_waitcnt vmcnt(0)
	v_mul_f64 v[96:97], v[90:91], v[94:95]
	s_delay_alu instid0(VALU_DEP_1) | instskip(SKIP_1) | instid1(VALU_DEP_1)
	v_fma_f64 v[42:43], v[88:89], v[92:93], v[96:97]
	v_mul_f64 v[88:89], v[88:89], v[94:95]
	;; [unrolled: 15-line block ×3, first 2 shown]
	v_fma_f64 v[138:139], v[78:79], v[88:89], -v[76:77]
	s_clause 0x1
	global_load_b128 v[80:83], v4, s[8:9] offset:160
	global_load_b128 v[76:79], v4, s[8:9] offset:176
	v_mov_b32_e32 v4, v5
	v_mov_b32_e32 v5, v6
	s_clause 0x3
	scratch_store_b64 off, v[32:33], off offset:240
	scratch_store_b64 off, v[36:37], off offset:264
	;; [unrolled: 1-line block ×4, first 2 shown]
	s_waitcnt vmcnt(1)
	v_mul_f64 v[122:123], v[114:115], v[82:83]
	s_delay_alu instid0(VALU_DEP_1) | instskip(SKIP_1) | instid1(VALU_DEP_2)
	v_fma_f64 v[140:141], v[112:113], v[80:81], v[122:123]
	v_mul_f64 v[112:113], v[112:113], v[82:83]
	v_add_f64 v[218:219], v[34:35], -v[140:141]
	s_delay_alu instid0(VALU_DEP_2) | instskip(SKIP_2) | instid1(VALU_DEP_2)
	v_fma_f64 v[253:254], v[114:115], v[80:81], -v[112:113]
	s_waitcnt vmcnt(0)
	v_mul_f64 v[114:115], v[110:111], v[78:79]
	v_add_f64 v[240:241], v[36:37], -v[253:254]
	s_delay_alu instid0(VALU_DEP_2) | instskip(SKIP_2) | instid1(VALU_DEP_4)
	v_fma_f64 v[129:130], v[108:109], v[76:77], v[114:115]
	v_mul_f64 v[108:109], v[108:109], v[78:79]
	v_add_f64 v[246:247], v[36:37], v[253:254]
	v_mul_f64 v[158:159], v[240:241], s[24:25]
	v_mul_f64 v[36:37], v[240:241], s[42:43]
	s_delay_alu instid0(VALU_DEP_4)
	v_fma_f64 v[127:128], v[110:111], v[76:77], -v[108:109]
	v_mul_f64 v[108:109], v[106:107], v[66:67]
	v_mul_f64 v[220:221], v[246:247], s[14:15]
	;; [unrolled: 1-line block ×4, first 2 shown]
	v_add_f64 v[232:233], v[32:33], -v[127:128]
	v_fma_f64 v[114:115], v[104:105], v[64:65], v[108:109]
	v_mul_f64 v[104:105], v[104:105], v[66:67]
	v_add_f64 v[234:235], v[32:33], v[127:128]
	s_delay_alu instid0(VALU_DEP_4) | instskip(SKIP_1) | instid1(VALU_DEP_4)
	v_mul_f64 v[154:155], v[232:233], s[30:31]
	v_mul_f64 v[32:33], v[232:233], s[26:27]
	v_fma_f64 v[112:113], v[106:107], v[64:65], -v[104:105]
	v_add_f64 v[104:105], v[44:45], -v[4:5]
	v_mul_f64 v[156:157], v[234:235], s[28:29]
	s_delay_alu instid0(VALU_DEP_3) | instskip(NEXT) | instid1(VALU_DEP_3)
	v_add_f64 v[222:223], v[28:29], v[112:113]
	v_mul_f64 v[122:123], v[104:105], s[22:23]
	v_mul_f64 v[106:107], v[104:105], s[44:45]
	;; [unrolled: 1-line block ×7, first 2 shown]
	v_fma_f64 v[180:181], v[168:169], s[14:15], v[122:123]
	v_fma_f64 v[182:183], v[168:169], s[14:15], -v[122:123]
	v_add_f64 v[122:123], v[44:45], v[4:5]
	v_add_f64 v[4:5], v[100:101], v[46:47]
	v_fma_f64 v[170:171], v[168:169], s[28:29], v[106:107]
	v_fma_f64 v[106:107], v[168:169], s[28:29], -v[106:107]
	v_fma_f64 v[178:179], v[168:169], s[16:17], v[110:111]
	v_fma_f64 v[110:111], v[168:169], s[16:17], -v[110:111]
	;; [unrolled: 2-line block ×5, first 2 shown]
	v_mul_f64 v[184:185], v[122:123], s[16:17]
	scratch_store_b64 off, v[4:5], off offset:168 ; 8-byte Folded Spill
	v_add_f64 v[4:5], v[102:103], v[44:45]
	v_mul_f64 v[186:187], v[122:123], s[14:15]
	v_mul_f64 v[125:126], v[122:123], s[28:29]
	;; [unrolled: 1-line block ×5, first 2 shown]
	v_add_f64 v[44:45], v[100:101], v[170:171]
	v_add_f64 v[6:7], v[100:101], v[178:179]
	;; [unrolled: 1-line block ×4, first 2 shown]
	v_dual_mov_b32 v179, v43 :: v_dual_mov_b32 v178, v42
	v_fma_f64 v[204:205], v[190:191], s[36:37], v[184:185]
	v_fma_f64 v[184:185], v[190:191], s[24:25], v[184:185]
	scratch_store_b64 off, v[4:5], off offset:176 ; 8-byte Folded Spill
	v_add_f64 v[4:5], v[100:101], v[106:107]
	scratch_store_b64 off, v[24:25], off offset:144 ; 8-byte Folded Spill
	v_add_f64 v[24:25], v[100:101], v[110:111]
	v_fma_f64 v[208:209], v[190:191], s[22:23], v[186:187]
	v_fma_f64 v[216:217], v[190:191], s[18:19], v[122:123]
	;; [unrolled: 1-line block ×5, first 2 shown]
	v_add_f64 v[106:107], v[100:101], v[176:177]
	v_fma_f64 v[198:199], v[190:191], s[30:31], v[125:126]
	v_fma_f64 v[202:203], v[190:191], s[40:41], v[168:169]
	;; [unrolled: 1-line block ×5, first 2 shown]
	v_add_f64 v[122:123], v[100:101], v[180:181]
	v_add_f64 v[190:191], v[100:101], v[182:183]
	;; [unrolled: 1-line block ×3, first 2 shown]
	v_mul_f64 v[194:195], v[232:233], s[24:25]
	v_dual_mov_b32 v183, v51 :: v_dual_mov_b32 v182, v50
	v_mul_f64 v[50:51], v[232:233], s[34:35]
	v_add_f64 v[48:49], v[102:103], v[204:205]
	scratch_store_b64 off, v[24:25], off offset:208 ; 8-byte Folded Spill
	v_add_f64 v[24:25], v[102:103], v[184:185]
	v_add_f64 v[204:205], v[102:103], v[216:217]
	v_add_f64 v[216:217], v[28:29], -v[112:113]
	v_add_f64 v[125:126], v[102:103], v[206:207]
	v_add_f64 v[224:225], v[102:103], v[210:211]
	;; [unrolled: 1-line block ×5, first 2 shown]
	v_add_f64 v[196:197], v[30:31], -v[129:130]
	v_add_f64 v[188:189], v[102:103], v[212:213]
	v_add_f64 v[212:213], v[34:35], v[140:141]
	;; [unrolled: 1-line block ×3, first 2 shown]
	v_dual_mov_b32 v203, v135 :: v_dual_mov_b32 v202, v134
	v_dual_mov_b32 v199, v137 :: v_dual_mov_b32 v198, v136
	v_add_f64 v[168:169], v[102:103], v[168:169]
	v_mul_f64 v[104:105], v[222:223], s[14:15]
	s_delay_alu instid0(VALU_DEP_4)
	v_add_f64 v[134:135], v[182:183], -v[202:203]
	v_add_f64 v[136:137], v[182:183], v[202:203]
	v_add_f64 v[242:243], v[178:179], v[198:199]
	v_add_f64 v[248:249], v[178:179], -v[198:199]
	scratch_store_b64 off, v[24:25], off offset:200 ; 8-byte Folded Spill
	v_add_f64 v[24:25], v[102:103], v[208:209]
	v_add_f64 v[208:209], v[102:103], v[214:215]
	v_mul_f64 v[214:215], v[240:241], s[22:23]
	v_mul_f64 v[150:151], v[216:217], s[38:39]
	;; [unrolled: 1-line block ×5, first 2 shown]
	scratch_store_b64 off, v[24:25], off offset:232 ; 8-byte Folded Spill
	v_dual_mov_b32 v24, v26 :: v_dual_mov_b32 v25, v27
	v_mul_f64 v[26:27], v[216:217], s[26:27]
	scratch_store_b64 off, v[4:5], off offset:152 ; 8-byte Folded Spill
	v_add_f64 v[4:5], v[102:103], v[200:201]
	s_clause 0x1
	scratch_store_b64 off, v[28:29], off offset:216
	scratch_store_b64 off, v[24:25], off offset:224
	v_add_f64 v[176:177], v[24:25], v[114:115]
	v_add_f64 v[180:181], v[24:25], -v[114:115]
	v_mul_f64 v[24:25], v[222:223], s[12:13]
	v_mul_f64 v[200:201], v[234:235], s[16:17]
	;; [unrolled: 1-line block ×3, first 2 shown]
	s_clause 0x1
	scratch_store_b64 off, v[26:27], off offset:184
	scratch_store_b64 off, v[4:5], off offset:160
	v_add_f64 v[4:5], v[100:101], v[108:109]
	v_fma_f64 v[100:101], v[176:177], s[12:13], v[26:27]
	v_dual_mov_b32 v26, v131 :: v_dual_mov_b32 v27, v132
	scratch_store_b64 off, v[24:25], off offset:192 ; 8-byte Folded Spill
	v_add_f64 v[132:133], v[40:41], v[138:139]
	s_clause 0x3
	scratch_store_b64 off, v[34:35], off offset:272
	scratch_store_b64 off, v[140:141], off offset:256
	;; [unrolled: 1-line block ×4, first 2 shown]
	v_add_f64 v[228:229], v[38:39], v[26:27]
	v_add_f64 v[236:237], v[38:39], -v[26:27]
	v_mul_f64 v[140:141], v[240:241], s[38:39]
	s_clause 0x1
	scratch_store_b64 off, v[38:39], off offset:304
	scratch_store_b64 off, v[26:27], off offset:288
	v_mul_f64 v[26:27], v[136:137], s[10:11]
	v_fma_f64 v[34:35], v[192:193], s[12:13], v[32:33]
	v_fma_f64 v[30:31], v[180:181], s[24:25], v[28:29]
	;; [unrolled: 1-line block ×4, first 2 shown]
	v_add_f64 v[44:45], v[100:101], v[44:45]
	v_fma_f64 v[100:101], v[180:181], s[40:41], v[24:25]
	v_add_f64 v[24:25], v[40:41], -v[138:139]
	v_mul_f64 v[138:139], v[234:235], s[4:5]
	v_mul_f64 v[238:239], v[132:133], s[10:11]
	;; [unrolled: 1-line block ×4, first 2 shown]
	v_add_f64 v[30:31], v[30:31], v[224:225]
	v_add_f64 v[28:29], v[28:29], v[188:189]
	v_add_f64 v[46:47], v[100:101], v[46:47]
	v_fma_f64 v[100:101], v[192:193], s[16:17], v[194:195]
	v_mul_f64 v[230:231], v[24:25], s[20:21]
	v_mul_f64 v[144:145], v[24:25], s[36:37]
	;; [unrolled: 1-line block ×3, first 2 shown]
	v_fma_f64 v[166:167], v[236:237], s[18:19], v[164:165]
	v_mul_f64 v[40:41], v[24:25], s[30:31]
	v_add_f64 v[44:45], v[100:101], v[44:45]
	v_fma_f64 v[100:101], v[196:197], s[36:37], v[200:201]
	s_delay_alu instid0(VALU_DEP_3) | instskip(NEXT) | instid1(VALU_DEP_2)
	v_fma_f64 v[42:43], v[228:229], s[28:29], v[40:41]
	v_add_f64 v[46:47], v[100:101], v[46:47]
	v_fma_f64 v[100:101], v[212:213], s[14:15], v[214:215]
	s_delay_alu instid0(VALU_DEP_1) | instskip(SKIP_1) | instid1(VALU_DEP_1)
	v_add_f64 v[44:45], v[100:101], v[44:45]
	v_fma_f64 v[100:101], v[218:219], s[34:35], v[220:221]
	v_add_f64 v[46:47], v[100:101], v[46:47]
	v_fma_f64 v[100:101], v[228:229], s[10:11], v[230:231]
	s_delay_alu instid0(VALU_DEP_1) | instskip(SKIP_1) | instid1(VALU_DEP_1)
	v_add_f64 v[44:45], v[100:101], v[44:45]
	;; [unrolled: 5-line block ×3, first 2 shown]
	v_fma_f64 v[44:45], v[248:249], s[42:43], v[250:251]
	v_add_f64 v[102:103], v[44:45], v[46:47]
	v_mul_f64 v[44:45], v[216:217], s[22:23]
	s_delay_alu instid0(VALU_DEP_1) | instskip(SKIP_1) | instid1(VALU_DEP_2)
	v_fma_f64 v[46:47], v[176:177], s[14:15], v[44:45]
	v_fma_f64 v[44:45], v[176:177], s[14:15], -v[44:45]
	v_add_f64 v[46:47], v[46:47], v[106:107]
	v_fma_f64 v[106:107], v[180:181], s[34:35], v[104:105]
	s_delay_alu instid0(VALU_DEP_3) | instskip(SKIP_2) | instid1(VALU_DEP_4)
	v_add_f64 v[44:45], v[44:45], v[4:5]
	v_fma_f64 v[104:105], v[180:181], s[22:23], v[104:105]
	v_mul_f64 v[4:5], v[134:135], s[22:23]
	v_add_f64 v[106:107], v[106:107], v[170:171]
	v_mul_f64 v[170:171], v[232:233], s[18:19]
	s_delay_alu instid0(VALU_DEP_4) | instskip(NEXT) | instid1(VALU_DEP_2)
	v_add_f64 v[104:105], v[104:105], v[168:169]
	v_fma_f64 v[108:109], v[192:193], s[4:5], v[170:171]
	s_delay_alu instid0(VALU_DEP_1) | instskip(SKIP_1) | instid1(VALU_DEP_1)
	v_add_f64 v[46:47], v[108:109], v[46:47]
	v_fma_f64 v[108:109], v[196:197], s[42:43], v[138:139]
	v_add_f64 v[106:107], v[108:109], v[106:107]
	v_fma_f64 v[108:109], v[212:213], s[10:11], v[140:141]
	s_delay_alu instid0(VALU_DEP_1) | instskip(SKIP_1) | instid1(VALU_DEP_1)
	v_add_f64 v[46:47], v[108:109], v[46:47]
	v_fma_f64 v[108:109], v[218:219], s[20:21], v[142:143]
	;; [unrolled: 5-line block ×3, first 2 shown]
	v_add_f64 v[106:107], v[108:109], v[106:107]
	v_fma_f64 v[108:109], v[242:243], s[28:29], v[148:149]
	s_delay_alu instid0(VALU_DEP_1) | instskip(SKIP_1) | instid1(VALU_DEP_1)
	v_add_f64 v[108:109], v[108:109], v[46:47]
	v_mul_f64 v[46:47], v[136:137], s[28:29]
	v_fma_f64 v[110:111], v[248:249], s[44:45], v[46:47]
	v_fma_f64 v[46:47], v[248:249], s[30:31], v[46:47]
	s_delay_alu instid0(VALU_DEP_2) | instskip(SKIP_1) | instid1(VALU_DEP_1)
	v_add_f64 v[110:111], v[110:111], v[106:107]
	v_fma_f64 v[106:107], v[192:193], s[4:5], -v[170:171]
	v_add_f64 v[44:45], v[106:107], v[44:45]
	v_fma_f64 v[106:107], v[196:197], s[18:19], v[138:139]
	v_mul_f64 v[138:139], v[216:217], s[18:19]
	s_delay_alu instid0(VALU_DEP_2) | instskip(SKIP_2) | instid1(VALU_DEP_2)
	v_add_f64 v[104:105], v[106:107], v[104:105]
	v_fma_f64 v[106:107], v[212:213], s[10:11], -v[140:141]
	v_mul_f64 v[140:141], v[222:223], s[4:5]
	v_add_f64 v[44:45], v[106:107], v[44:45]
	v_fma_f64 v[106:107], v[218:219], s[38:39], v[142:143]
	v_fma_f64 v[142:143], v[192:193], s[14:15], v[50:51]
	s_delay_alu instid0(VALU_DEP_2) | instskip(SKIP_1) | instid1(VALU_DEP_1)
	v_add_f64 v[104:105], v[106:107], v[104:105]
	v_fma_f64 v[106:107], v[228:229], s[16:17], -v[144:145]
	v_add_f64 v[44:45], v[106:107], v[44:45]
	v_fma_f64 v[106:107], v[236:237], s[36:37], v[146:147]
	s_delay_alu instid0(VALU_DEP_1) | instskip(SKIP_1) | instid1(VALU_DEP_2)
	v_add_f64 v[106:107], v[106:107], v[104:105]
	v_fma_f64 v[104:105], v[242:243], s[28:29], -v[148:149]
	v_add_f64 v[106:107], v[46:47], v[106:107]
	s_delay_alu instid0(VALU_DEP_2) | instskip(SKIP_2) | instid1(VALU_DEP_2)
	v_add_f64 v[104:105], v[104:105], v[44:45]
	v_fma_f64 v[44:45], v[176:177], s[4:5], v[138:139]
	v_fma_f64 v[46:47], v[180:181], s[42:43], v[140:141]
	v_add_f64 v[44:45], v[44:45], v[6:7]
	s_delay_alu instid0(VALU_DEP_2) | instskip(SKIP_2) | instid1(VALU_DEP_4)
	v_add_f64 v[46:47], v[46:47], v[48:49]
	v_mul_f64 v[6:7], v[132:133], s[12:13]
	v_mul_f64 v[48:49], v[134:135], s[20:21]
	v_add_f64 v[44:45], v[142:143], v[44:45]
	v_mul_f64 v[142:143], v[234:235], s[14:15]
	s_delay_alu instid0(VALU_DEP_1) | instskip(NEXT) | instid1(VALU_DEP_1)
	v_fma_f64 v[144:145], v[196:197], s[22:23], v[142:143]
	v_add_f64 v[46:47], v[144:145], v[46:47]
	v_mul_f64 v[144:145], v[240:241], s[30:31]
	s_delay_alu instid0(VALU_DEP_1) | instskip(NEXT) | instid1(VALU_DEP_1)
	v_fma_f64 v[146:147], v[212:213], s[28:29], v[144:145]
	;; [unrolled: 4-line block ×3, first 2 shown]
	v_add_f64 v[46:47], v[148:149], v[46:47]
	v_mul_f64 v[148:149], v[24:25], s[26:27]
	v_mul_f64 v[24:25], v[24:25], s[22:23]
	s_delay_alu instid0(VALU_DEP_2) | instskip(NEXT) | instid1(VALU_DEP_1)
	v_fma_f64 v[168:169], v[228:229], s[12:13], v[148:149]
	v_add_f64 v[44:45], v[168:169], v[44:45]
	v_fma_f64 v[168:169], v[236:237], s[40:41], v[6:7]
	v_fma_f64 v[6:7], v[236:237], s[26:27], v[6:7]
	s_delay_alu instid0(VALU_DEP_2) | instskip(SKIP_1) | instid1(VALU_DEP_1)
	v_add_f64 v[46:47], v[168:169], v[46:47]
	v_fma_f64 v[168:169], v[242:243], s[10:11], v[48:49]
	v_add_f64 v[44:45], v[168:169], v[44:45]
	v_fma_f64 v[168:169], v[248:249], s[38:39], v[26:27]
	v_fma_f64 v[26:27], v[248:249], s[20:21], v[26:27]
	s_delay_alu instid0(VALU_DEP_2) | instskip(SKIP_1) | instid1(VALU_DEP_1)
	v_add_f64 v[46:47], v[168:169], v[46:47]
	v_fma_f64 v[168:169], v[176:177], s[10:11], v[150:151]
	v_add_f64 v[122:123], v[168:169], v[122:123]
	v_fma_f64 v[168:169], v[180:181], s[20:21], v[152:153]
	s_delay_alu instid0(VALU_DEP_1) | instskip(SKIP_1) | instid1(VALU_DEP_1)
	v_add_f64 v[125:126], v[168:169], v[125:126]
	v_fma_f64 v[168:169], v[192:193], s[28:29], v[154:155]
	v_add_f64 v[122:123], v[168:169], v[122:123]
	v_fma_f64 v[168:169], v[196:197], s[44:45], v[156:157]
	s_delay_alu instid0(VALU_DEP_1) | instskip(SKIP_1) | instid1(VALU_DEP_1)
	v_add_f64 v[125:126], v[168:169], v[125:126]
	v_fma_f64 v[168:169], v[212:213], s[16:17], v[158:159]
	v_add_f64 v[122:123], v[168:169], v[122:123]
	v_fma_f64 v[168:169], v[218:219], s[36:37], v[160:161]
	s_delay_alu instid0(VALU_DEP_1) | instskip(SKIP_1) | instid1(VALU_DEP_2)
	v_add_f64 v[125:126], v[168:169], v[125:126]
	v_fma_f64 v[168:169], v[228:229], s[4:5], v[162:163]
	v_add_f64 v[125:126], v[166:167], v[125:126]
	v_mul_f64 v[166:167], v[134:135], s[40:41]
	s_delay_alu instid0(VALU_DEP_3) | instskip(NEXT) | instid1(VALU_DEP_2)
	v_add_f64 v[122:123], v[168:169], v[122:123]
	v_fma_f64 v[168:169], v[242:243], s[12:13], v[166:167]
	s_delay_alu instid0(VALU_DEP_1) | instskip(SKIP_1) | instid1(VALU_DEP_1)
	v_add_f64 v[168:169], v[168:169], v[122:123]
	v_mul_f64 v[122:123], v[136:137], s[12:13]
	v_fma_f64 v[170:171], v[248:249], s[26:27], v[122:123]
	s_delay_alu instid0(VALU_DEP_1) | instskip(SKIP_1) | instid1(VALU_DEP_1)
	v_add_f64 v[170:171], v[170:171], v[125:126]
	v_mul_f64 v[125:126], v[216:217], s[36:37]
	v_fma_f64 v[184:185], v[176:177], s[16:17], v[125:126]
	s_delay_alu instid0(VALU_DEP_1) | instskip(NEXT) | instid1(VALU_DEP_1)
	v_add_f64 v[184:185], v[184:185], v[226:227]
	v_add_f64 v[34:35], v[34:35], v[184:185]
	v_mul_f64 v[184:185], v[234:235], s[12:13]
	s_delay_alu instid0(VALU_DEP_2) | instskip(NEXT) | instid1(VALU_DEP_2)
	v_add_f64 v[34:35], v[38:39], v[34:35]
	v_fma_f64 v[224:225], v[196:197], s[40:41], v[184:185]
	v_mul_f64 v[38:39], v[246:247], s[4:5]
	s_delay_alu instid0(VALU_DEP_3) | instskip(NEXT) | instid1(VALU_DEP_3)
	v_add_f64 v[34:35], v[42:43], v[34:35]
	v_add_f64 v[30:31], v[224:225], v[30:31]
	s_delay_alu instid0(VALU_DEP_3) | instskip(SKIP_3) | instid1(VALU_DEP_4)
	v_fma_f64 v[224:225], v[218:219], s[18:19], v[38:39]
	v_mul_f64 v[42:43], v[132:133], s[28:29]
	v_mul_f64 v[131:132], v[132:133], s[14:15]
	v_mul_f64 v[133:134], v[134:135], s[36:37]
	v_add_f64 v[30:31], v[224:225], v[30:31]
	s_delay_alu instid0(VALU_DEP_4) | instskip(NEXT) | instid1(VALU_DEP_1)
	v_fma_f64 v[224:225], v[236:237], s[44:45], v[42:43]
	v_add_f64 v[30:31], v[224:225], v[30:31]
	v_fma_f64 v[224:225], v[242:243], s[14:15], v[4:5]
	v_fma_f64 v[4:5], v[242:243], s[14:15], -v[4:5]
	s_delay_alu instid0(VALU_DEP_2) | instskip(SKIP_2) | instid1(VALU_DEP_2)
	v_add_f64 v[224:225], v[224:225], v[34:35]
	v_mul_f64 v[34:35], v[136:137], s[14:15]
	v_mul_f64 v[135:136], v[136:137], s[16:17]
	v_fma_f64 v[226:227], v[248:249], s[34:35], v[34:35]
	s_delay_alu instid0(VALU_DEP_1) | instskip(SKIP_1) | instid1(VALU_DEP_1)
	v_add_f64 v[226:227], v[226:227], v[30:31]
	v_mul_f64 v[30:31], v[216:217], s[30:31]
	v_fma_f64 v[216:217], v[176:177], s[28:29], v[30:31]
	v_fma_f64 v[30:31], v[176:177], s[28:29], -v[30:31]
	s_delay_alu instid0(VALU_DEP_2) | instskip(SKIP_1) | instid1(VALU_DEP_3)
	v_add_f64 v[210:211], v[216:217], v[210:211]
	v_mul_f64 v[216:217], v[222:223], s[28:29]
	v_add_f64 v[30:31], v[30:31], v[206:207]
	s_delay_alu instid0(VALU_DEP_2) | instskip(SKIP_1) | instid1(VALU_DEP_2)
	v_fma_f64 v[222:223], v[180:181], s[44:45], v[216:217]
	v_fma_f64 v[206:207], v[180:181], s[30:31], v[216:217]
	v_add_f64 v[208:209], v[222:223], v[208:209]
	v_mul_f64 v[222:223], v[232:233], s[20:21]
	s_delay_alu instid0(VALU_DEP_3) | instskip(NEXT) | instid1(VALU_DEP_2)
	v_add_f64 v[204:205], v[206:207], v[204:205]
	v_fma_f64 v[232:233], v[192:193], s[10:11], v[222:223]
	v_fma_f64 v[206:207], v[192:193], s[10:11], -v[222:223]
	s_delay_alu instid0(VALU_DEP_2) | instskip(SKIP_1) | instid1(VALU_DEP_3)
	v_add_f64 v[210:211], v[232:233], v[210:211]
	v_mul_f64 v[232:233], v[234:235], s[10:11]
	v_add_f64 v[30:31], v[206:207], v[30:31]
	s_delay_alu instid0(VALU_DEP_2) | instskip(SKIP_1) | instid1(VALU_DEP_2)
	v_fma_f64 v[234:235], v[196:197], s[38:39], v[232:233]
	v_fma_f64 v[206:207], v[196:197], s[20:21], v[232:233]
	v_add_f64 v[208:209], v[234:235], v[208:209]
	v_mul_f64 v[234:235], v[240:241], s[40:41]
	s_delay_alu instid0(VALU_DEP_3) | instskip(NEXT) | instid1(VALU_DEP_2)
	v_add_f64 v[204:205], v[206:207], v[204:205]
	v_fma_f64 v[240:241], v[212:213], s[12:13], v[234:235]
	v_fma_f64 v[206:207], v[212:213], s[12:13], -v[234:235]
	s_delay_alu instid0(VALU_DEP_2) | instskip(SKIP_1) | instid1(VALU_DEP_3)
	v_add_f64 v[210:211], v[240:241], v[210:211]
	v_mul_f64 v[240:241], v[246:247], s[12:13]
	v_add_f64 v[30:31], v[206:207], v[30:31]
	s_delay_alu instid0(VALU_DEP_2) | instskip(SKIP_1) | instid1(VALU_DEP_2)
	v_fma_f64 v[246:247], v[218:219], s[26:27], v[240:241]
	v_fma_f64 v[206:207], v[218:219], s[40:41], v[240:241]
	v_add_f64 v[208:209], v[246:247], v[208:209]
	v_fma_f64 v[246:247], v[228:229], s[14:15], v[24:25]
	v_fma_f64 v[24:25], v[228:229], s[14:15], -v[24:25]
	s_delay_alu instid0(VALU_DEP_4) | instskip(NEXT) | instid1(VALU_DEP_3)
	v_add_f64 v[204:205], v[206:207], v[204:205]
	v_add_f64 v[210:211], v[246:247], v[210:211]
	v_fma_f64 v[246:247], v[236:237], s[34:35], v[131:132]
	s_delay_alu instid0(VALU_DEP_4) | instskip(SKIP_2) | instid1(VALU_DEP_4)
	v_add_f64 v[24:25], v[24:25], v[30:31]
	v_fma_f64 v[30:31], v[236:237], s[22:23], v[131:132]
	v_fma_f64 v[131:132], v[242:243], s[16:17], -v[133:134]
	v_add_f64 v[246:247], v[246:247], v[208:209]
	v_fma_f64 v[208:209], v[242:243], s[16:17], v[133:134]
	s_delay_alu instid0(VALU_DEP_4)
	v_add_f64 v[30:31], v[30:31], v[204:205]
	v_fma_f64 v[133:134], v[248:249], s[36:37], v[135:136]
	v_add_f64 v[204:205], v[131:132], v[24:25]
	v_fma_f64 v[24:25], v[176:177], s[16:17], -v[125:126]
	v_add_f64 v[208:209], v[208:209], v[210:211]
	v_fma_f64 v[210:211], v[248:249], s[24:25], v[135:136]
	v_add_f64 v[206:207], v[133:134], v[30:31]
	v_fma_f64 v[30:31], v[192:193], s[12:13], -v[32:33]
	v_add_f64 v[24:25], v[24:25], v[186:187]
	s_delay_alu instid0(VALU_DEP_4) | instskip(NEXT) | instid1(VALU_DEP_2)
	v_add_f64 v[210:211], v[210:211], v[246:247]
	v_add_f64 v[24:25], v[30:31], v[24:25]
	v_fma_f64 v[30:31], v[196:197], s[26:27], v[184:185]
	s_delay_alu instid0(VALU_DEP_1) | instskip(SKIP_1) | instid1(VALU_DEP_1)
	v_add_f64 v[28:29], v[30:31], v[28:29]
	v_fma_f64 v[30:31], v[212:213], s[4:5], -v[36:37]
	v_add_f64 v[24:25], v[30:31], v[24:25]
	v_fma_f64 v[30:31], v[218:219], s[42:43], v[38:39]
	s_delay_alu instid0(VALU_DEP_1) | instskip(SKIP_1) | instid1(VALU_DEP_1)
	v_add_f64 v[28:29], v[30:31], v[28:29]
	v_fma_f64 v[30:31], v[228:229], s[28:29], -v[40:41]
	v_add_f64 v[24:25], v[30:31], v[24:25]
	v_fma_f64 v[30:31], v[236:237], s[30:31], v[42:43]
	s_delay_alu instid0(VALU_DEP_2) | instskip(NEXT) | instid1(VALU_DEP_2)
	v_add_f64 v[232:233], v[4:5], v[24:25]
	v_add_f64 v[28:29], v[30:31], v[28:29]
	v_fma_f64 v[30:31], v[248:249], s[22:23], v[34:35]
	v_fma_f64 v[4:5], v[176:177], s[10:11], -v[150:151]
	v_fma_f64 v[24:25], v[180:181], s[38:39], v[152:153]
	s_delay_alu instid0(VALU_DEP_3)
	v_add_f64 v[234:235], v[30:31], v[28:29]
	scratch_load_b64 v[28:29], off, off offset:232 ; 8-byte Folded Reload
	v_add_f64 v[4:5], v[4:5], v[190:191]
	v_fma_f64 v[30:31], v[248:249], s[40:41], v[122:123]
	s_waitcnt vmcnt(0)
	v_add_f64 v[24:25], v[24:25], v[28:29]
	v_fma_f64 v[28:29], v[192:193], s[28:29], -v[154:155]
	s_delay_alu instid0(VALU_DEP_1) | instskip(SKIP_1) | instid1(VALU_DEP_1)
	v_add_f64 v[4:5], v[28:29], v[4:5]
	v_fma_f64 v[28:29], v[196:197], s[30:31], v[156:157]
	v_add_f64 v[24:25], v[28:29], v[24:25]
	v_fma_f64 v[28:29], v[212:213], s[16:17], -v[158:159]
	s_delay_alu instid0(VALU_DEP_1) | instskip(SKIP_1) | instid1(VALU_DEP_1)
	v_add_f64 v[4:5], v[28:29], v[4:5]
	v_fma_f64 v[28:29], v[218:219], s[24:25], v[160:161]
	;; [unrolled: 5-line block ×3, first 2 shown]
	v_add_f64 v[24:25], v[28:29], v[24:25]
	v_fma_f64 v[28:29], v[242:243], s[12:13], -v[166:167]
	s_delay_alu instid0(VALU_DEP_2)
	v_add_f64 v[190:191], v[30:31], v[24:25]
	scratch_load_b64 v[24:25], off, off offset:208 ; 8-byte Folded Reload
	v_add_f64 v[188:189], v[28:29], v[4:5]
	scratch_load_b64 v[28:29], off, off offset:200 ; 8-byte Folded Reload
	v_fma_f64 v[4:5], v[176:177], s[4:5], -v[138:139]
	v_fma_f64 v[30:31], v[218:219], s[22:23], v[220:221]
	s_waitcnt vmcnt(1)
	s_delay_alu instid0(VALU_DEP_2) | instskip(SKIP_2) | instid1(VALU_DEP_1)
	v_add_f64 v[4:5], v[4:5], v[24:25]
	v_fma_f64 v[24:25], v[180:181], s[18:19], v[140:141]
	s_waitcnt vmcnt(0)
	v_add_f64 v[24:25], v[24:25], v[28:29]
	v_fma_f64 v[28:29], v[192:193], s[14:15], -v[50:51]
	s_delay_alu instid0(VALU_DEP_1) | instskip(SKIP_1) | instid1(VALU_DEP_1)
	v_add_f64 v[4:5], v[28:29], v[4:5]
	v_fma_f64 v[28:29], v[196:197], s[34:35], v[142:143]
	v_add_f64 v[24:25], v[28:29], v[24:25]
	v_fma_f64 v[28:29], v[212:213], s[28:29], -v[144:145]
	s_delay_alu instid0(VALU_DEP_1) | instskip(SKIP_1) | instid1(VALU_DEP_1)
	v_add_f64 v[4:5], v[28:29], v[4:5]
	v_fma_f64 v[28:29], v[218:219], s[30:31], v[146:147]
	v_add_f64 v[24:25], v[28:29], v[24:25]
	v_fma_f64 v[28:29], v[228:229], s[12:13], -v[148:149]
	s_delay_alu instid0(VALU_DEP_2) | instskip(NEXT) | instid1(VALU_DEP_2)
	v_add_f64 v[6:7], v[6:7], v[24:25]
	v_add_f64 v[4:5], v[28:29], v[4:5]
	v_fma_f64 v[24:25], v[242:243], s[10:11], -v[48:49]
	s_delay_alu instid0(VALU_DEP_3) | instskip(SKIP_1) | instid1(VALU_DEP_3)
	v_add_f64 v[186:187], v[26:27], v[6:7]
	v_fma_f64 v[26:27], v[196:197], s[24:25], v[200:201]
	v_add_f64 v[184:185], v[24:25], v[4:5]
	s_clause 0x1
	scratch_load_b64 v[4:5], off, off offset:168
	scratch_load_b64 v[6:7], off, off offset:224
	s_waitcnt vmcnt(0)
	v_add_f64 v[4:5], v[4:5], v[6:7]
	s_clause 0x2
	scratch_load_b64 v[6:7], off, off offset:176
	scratch_load_b64 v[24:25], off, off offset:216
	;; [unrolled: 1-line block ×3, first 2 shown]
	s_waitcnt vmcnt(1)
	v_add_f64 v[6:7], v[6:7], v[24:25]
	scratch_load_b64 v[24:25], off, off offset:248 ; 8-byte Folded Reload
	s_waitcnt vmcnt(0)
	v_add_f64 v[4:5], v[4:5], v[24:25]
	scratch_load_b64 v[24:25], off, off offset:240 ; 8-byte Folded Reload
	;; [unrolled: 3-line block ×6, first 2 shown]
	v_add_f64 v[4:5], v[4:5], v[178:179]
	s_delay_alu instid0(VALU_DEP_1) | instskip(SKIP_4) | instid1(VALU_DEP_1)
	v_add_f64 v[4:5], v[4:5], v[198:199]
	s_waitcnt vmcnt(0)
	v_add_f64 v[6:7], v[6:7], v[24:25]
	scratch_load_b64 v[24:25], off, off offset:288 ; 8-byte Folded Reload
	v_add_f64 v[6:7], v[6:7], v[182:183]
	v_add_f64 v[6:7], v[6:7], v[202:203]
	s_waitcnt vmcnt(0)
	v_add_f64 v[4:5], v[4:5], v[24:25]
	scratch_load_b64 v[24:25], off, off offset:280 ; 8-byte Folded Reload
	s_waitcnt vmcnt(0)
	v_add_f64 v[6:7], v[6:7], v[24:25]
	scratch_load_b64 v[24:25], off, off offset:256 ; 8-byte Folded Reload
	v_add_f64 v[6:7], v[6:7], v[253:254]
	s_delay_alu instid0(VALU_DEP_1) | instskip(NEXT) | instid1(VALU_DEP_1)
	v_add_f64 v[6:7], v[6:7], v[127:128]
	v_add_f64 v[6:7], v[6:7], v[112:113]
	s_waitcnt vmcnt(0)
	v_add_f64 v[4:5], v[4:5], v[24:25]
	scratch_load_b64 v[24:25], off, off offset:144 ; 8-byte Folded Reload
	v_add_f64 v[4:5], v[4:5], v[129:130]
	s_delay_alu instid0(VALU_DEP_1) | instskip(SKIP_1) | instid1(VALU_DEP_1)
	v_add_f64 v[4:5], v[4:5], v[114:115]
	s_waitcnt vmcnt(0)
	v_add_f64 v[112:113], v[4:5], v[24:25]
	scratch_load_b64 v[4:5], off, off offset:136 ; 8-byte Folded Reload
	v_fma_f64 v[24:25], v[192:193], s[16:17], -v[194:195]
	s_waitcnt vmcnt(0)
	v_add_f64 v[114:115], v[6:7], v[4:5]
	s_clause 0x1
	scratch_load_b64 v[4:5], off, off offset:184
	scratch_load_b64 v[6:7], off, off offset:192
	s_waitcnt vmcnt(1)
	v_fma_f64 v[4:5], v[176:177], s[12:13], -v[4:5]
	s_delay_alu instid0(VALU_DEP_1)
	v_add_f64 v[4:5], v[4:5], v[28:29]
	scratch_load_b64 v[28:29], off, off offset:160 ; 8-byte Folded Reload
	s_waitcnt vmcnt(1)
	v_fma_f64 v[6:7], v[180:181], s[26:27], v[6:7]
	s_waitcnt vmcnt(0)
	s_waitcnt_vscnt null, 0x0
	s_barrier
	buffer_gl0_inv
	v_add_f64 v[4:5], v[24:25], v[4:5]
	v_fma_f64 v[24:25], v[228:229], s[10:11], -v[230:231]
	v_add_f64 v[6:7], v[6:7], v[28:29]
	v_fma_f64 v[28:29], v[212:213], s[14:15], -v[214:215]
	s_delay_alu instid0(VALU_DEP_2) | instskip(SKIP_1) | instid1(VALU_DEP_3)
	v_add_f64 v[6:7], v[26:27], v[6:7]
	v_fma_f64 v[26:27], v[236:237], s[20:21], v[238:239]
	v_add_f64 v[4:5], v[28:29], v[4:5]
	v_fma_f64 v[28:29], v[242:243], s[4:5], -v[244:245]
	s_delay_alu instid0(VALU_DEP_4) | instskip(SKIP_1) | instid1(VALU_DEP_4)
	v_add_f64 v[6:7], v[30:31], v[6:7]
	v_fma_f64 v[30:31], v[248:249], s[18:19], v[250:251]
	v_add_f64 v[4:5], v[24:25], v[4:5]
	s_delay_alu instid0(VALU_DEP_3) | instskip(NEXT) | instid1(VALU_DEP_2)
	v_add_f64 v[6:7], v[26:27], v[6:7]
	v_add_f64 v[128:129], v[28:29], v[4:5]
	v_lshrrev_b32_e32 v4, 2, v118
	s_delay_alu instid0(VALU_DEP_1) | instskip(NEXT) | instid1(VALU_DEP_1)
	v_mul_u32_u24_e32 v4, 52, v4
	v_or_b32_e32 v4, v4, v119
	s_delay_alu instid0(VALU_DEP_1)
	v_lshl_add_u32 v4, v4, 4, 0
	v_add_f64 v[130:131], v[30:31], v[6:7]
	ds_store_b128 v4, v[108:111] offset:128
	ds_store_b128 v4, v[44:47] offset:192
	;; [unrolled: 1-line block ×11, first 2 shown]
	ds_store_b128 v4, v[112:115]
	ds_store_b128 v4, v[128:131] offset:768
	s_and_saveexec_b32 s1, s0
	s_cbranch_execz .LBB0_23
; %bb.22:
	scratch_load_b128 v[24:27], off, off offset:88 ; 16-byte Folded Reload
	v_mul_f64 v[4:5], v[14:15], v[94:95]
	s_clause 0x1
	scratch_load_b128 v[28:31], off, off offset:72
	scratch_load_b128 v[44:47], off, off offset:104
	v_fma_f64 v[100:101], v[12:13], v[92:93], v[4:5]
	v_mul_f64 v[4:5], v[12:13], v[94:95]
	s_delay_alu instid0(VALU_DEP_1) | instskip(SKIP_4) | instid1(VALU_DEP_2)
	v_fma_f64 v[14:15], v[14:15], v[92:93], -v[4:5]
	s_waitcnt vmcnt(2)
	v_mul_f64 v[4:5], v[26:27], v[98:99]
	s_waitcnt vmcnt(0)
	v_mul_f64 v[6:7], v[44:45], v[66:67]
	v_fma_f64 v[12:13], v[24:25], v[96:97], v[4:5]
	v_mul_f64 v[4:5], v[24:25], v[98:99]
	s_delay_alu instid0(VALU_DEP_2) | instskip(NEXT) | instid1(VALU_DEP_2)
	v_add_f64 v[153:154], v[100:101], -v[12:13]
	v_fma_f64 v[40:41], v[26:27], v[96:97], -v[4:5]
	scratch_load_b128 v[24:27], off, off offset:56 ; 16-byte Folded Reload
	v_add_f64 v[161:162], v[100:101], v[12:13]
	v_mul_f64 v[157:158], v[153:154], s[36:37]
	v_add_f64 v[159:160], v[14:15], -v[40:41]
	v_add_f64 v[155:156], v[14:15], v[40:41]
	v_mul_f64 v[181:182], v[153:154], s[30:31]
	v_mul_f64 v[201:202], v[153:154], s[20:21]
	s_delay_alu instid0(VALU_DEP_4)
	v_mul_f64 v[163:164], v[159:160], s[36:37]
	v_mul_f64 v[165:166], v[159:160], s[40:41]
	;; [unrolled: 1-line block ×4, first 2 shown]
	s_waitcnt vmcnt(0)
	v_mul_f64 v[4:5], v[26:27], v[86:87]
	s_delay_alu instid0(VALU_DEP_1) | instskip(SKIP_1) | instid1(VALU_DEP_1)
	v_fma_f64 v[42:43], v[24:25], v[84:85], v[4:5]
	v_mul_f64 v[4:5], v[24:25], v[86:87]
	v_fma_f64 v[34:35], v[26:27], v[84:85], -v[4:5]
	v_mul_f64 v[4:5], v[22:23], v[90:91]
	s_delay_alu instid0(VALU_DEP_1) | instskip(SKIP_1) | instid1(VALU_DEP_2)
	v_fma_f64 v[32:33], v[20:21], v[88:89], v[4:5]
	v_mul_f64 v[4:5], v[20:21], v[90:91]
	v_add_f64 v[143:144], v[42:43], -v[32:33]
	s_delay_alu instid0(VALU_DEP_2)
	v_fma_f64 v[20:21], v[22:23], v[88:89], -v[4:5]
	scratch_load_b128 v[22:25], off, off offset:24 ; 16-byte Folded Reload
	v_add_f64 v[149:150], v[42:43], v[32:33]
	v_mul_f64 v[177:178], v[143:144], s[36:37]
	v_add_f64 v[145:146], v[34:35], v[20:21]
	v_add_f64 v[147:148], v[34:35], -v[20:21]
	v_mul_f64 v[197:198], v[143:144], s[26:27]
	s_delay_alu instid0(VALU_DEP_2) | instskip(SKIP_3) | instid1(VALU_DEP_1)
	v_mul_f64 v[179:180], v[147:148], s[36:37]
	v_mul_f64 v[199:200], v[147:148], s[26:27]
	s_waitcnt vmcnt(0)
	v_mul_f64 v[4:5], v[24:25], v[54:55]
	v_fma_f64 v[84:85], v[22:23], v[52:53], v[4:5]
	v_mul_f64 v[4:5], v[22:23], v[54:55]
	s_delay_alu instid0(VALU_DEP_1) | instskip(SKIP_1) | instid1(VALU_DEP_1)
	v_fma_f64 v[54:55], v[24:25], v[52:53], -v[4:5]
	v_mul_f64 v[4:5], v[10:11], v[74:75]
	v_fma_f64 v[22:23], v[8:9], v[72:73], v[4:5]
	v_mul_f64 v[4:5], v[8:9], v[74:75]
	s_delay_alu instid0(VALU_DEP_1) | instskip(SKIP_1) | instid1(VALU_DEP_1)
	v_fma_f64 v[26:27], v[10:11], v[72:73], -v[4:5]
	v_mul_f64 v[4:5], v[30:31], v[82:83]
	v_fma_f64 v[8:9], v[28:29], v[80:81], v[4:5]
	v_mul_f64 v[4:5], v[28:29], v[82:83]
	s_delay_alu instid0(VALU_DEP_2) | instskip(NEXT) | instid1(VALU_DEP_2)
	v_add_f64 v[135:136], v[22:23], -v[8:9]
	v_fma_f64 v[10:11], v[30:31], v[80:81], -v[4:5]
	scratch_load_b128 v[28:31], off, off offset:40 ; 16-byte Folded Reload
	v_add_f64 v[141:142], v[22:23], v[8:9]
	v_mul_f64 v[193:194], v[135:136], s[30:31]
	v_add_f64 v[137:138], v[26:27], v[10:11]
	v_add_f64 v[139:140], v[26:27], -v[10:11]
	s_delay_alu instid0(VALU_DEP_1) | instskip(SKIP_2) | instid1(VALU_DEP_1)
	v_mul_f64 v[195:196], v[139:140], s[30:31]
	s_waitcnt vmcnt(0)
	v_mul_f64 v[4:5], v[30:31], v[70:71]
	v_fma_f64 v[36:37], v[28:29], v[68:69], v[4:5]
	v_mul_f64 v[4:5], v[28:29], v[70:71]
	s_delay_alu instid0(VALU_DEP_1) | instskip(SKIP_1) | instid1(VALU_DEP_1)
	v_fma_f64 v[30:31], v[30:31], v[68:69], -v[4:5]
	v_mul_f64 v[4:5], v[18:19], v[78:79]
	v_fma_f64 v[24:25], v[16:17], v[76:77], v[4:5]
	v_mul_f64 v[4:5], v[16:17], v[78:79]
	s_delay_alu instid0(VALU_DEP_2) | instskip(NEXT) | instid1(VALU_DEP_2)
	v_add_f64 v[127:128], v[36:37], -v[24:25]
	v_fma_f64 v[16:17], v[18:19], v[76:77], -v[4:5]
	v_mul_f64 v[4:5], v[174:175], v[62:63]
	v_fma_f64 v[18:19], v[46:47], v[64:65], -v[6:7]
	v_add_f64 v[133:134], v[36:37], v[24:25]
	v_mul_f64 v[169:170], v[127:128], s[18:19]
	v_add_f64 v[129:130], v[30:31], v[16:17]
	v_fma_f64 v[38:39], v[172:173], v[60:61], v[4:5]
	v_mul_f64 v[4:5], v[172:173], v[62:63]
	v_add_f64 v[131:132], v[30:31], -v[16:17]
	v_mul_f64 v[189:190], v[127:128], s[34:35]
	s_delay_alu instid0(VALU_DEP_3) | instskip(SKIP_1) | instid1(VALU_DEP_4)
	v_fma_f64 v[52:53], v[174:175], v[60:61], -v[4:5]
	v_mul_f64 v[4:5], v[46:47], v[66:67]
	v_mul_f64 v[171:172], v[131:132], s[18:19]
	;; [unrolled: 1-line block ×5, first 2 shown]
	v_add_f64 v[122:123], v[52:53], -v[18:19]
	v_fma_f64 v[4:5], v[44:45], v[64:65], v[4:5]
	scratch_load_b128 v[44:47], off, off offset:120 ; 16-byte Folded Reload
	v_mul_f64 v[187:188], v[122:123], s[18:19]
	v_add_f64 v[114:115], v[38:39], -v[4:5]
	v_add_f64 v[125:126], v[38:39], v[4:5]
	s_delay_alu instid0(VALU_DEP_2) | instskip(SKIP_4) | instid1(VALU_DEP_2)
	v_mul_f64 v[167:168], v[114:115], s[22:23]
	v_mul_f64 v[185:186], v[114:115], s[18:19]
	s_waitcnt vmcnt(0)
	v_mul_f64 v[6:7], v[46:47], v[58:59]
	v_mul_f64 v[28:29], v[44:45], v[58:59]
	v_fma_f64 v[6:7], v[44:45], v[56:57], v[6:7]
	s_delay_alu instid0(VALU_DEP_2) | instskip(NEXT) | instid1(VALU_DEP_2)
	v_fma_f64 v[28:29], v[46:47], v[56:57], -v[28:29]
	v_add_f64 v[44:45], v[84:85], -v[6:7]
	s_delay_alu instid0(VALU_DEP_2) | instskip(SKIP_1) | instid1(VALU_DEP_3)
	v_add_f64 v[60:61], v[54:55], v[28:29]
	v_add_f64 v[86:87], v[84:85], v[6:7]
	v_mul_f64 v[46:47], v[44:45], s[18:19]
	v_mul_f64 v[48:49], v[44:45], s[20:21]
	;; [unrolled: 1-line block ×6, first 2 shown]
	v_fma_f64 v[62:63], v[60:61], s[4:5], v[46:47]
	v_fma_f64 v[64:65], v[60:61], s[4:5], -v[46:47]
	v_fma_f64 v[66:67], v[60:61], s[10:11], v[48:49]
	v_fma_f64 v[48:49], v[60:61], s[10:11], -v[48:49]
	;; [unrolled: 2-line block ×6, first 2 shown]
	v_add_f64 v[44:45], v[54:55], -v[28:29]
	v_add_f64 v[64:65], v[2:3], v[64:65]
	v_add_f64 v[66:67], v[2:3], v[66:67]
	;; [unrolled: 1-line block ×6, first 2 shown]
	v_mul_f64 v[58:59], v[114:115], s[30:31]
	v_mul_f64 v[46:47], v[44:45], s[18:19]
	v_mul_f64 v[76:77], v[44:45], s[20:21]
	v_mul_f64 v[78:79], v[44:45], s[22:23]
	v_mul_f64 v[80:81], v[44:45], s[24:25]
	v_mul_f64 v[82:83], v[44:45], s[26:27]
	v_mul_f64 v[44:45], v[44:45], s[44:45]
	v_fma_f64 v[88:89], v[86:87], s[4:5], -v[46:47]
	v_fma_f64 v[90:91], v[86:87], s[4:5], v[46:47]
	v_fma_f64 v[92:93], v[86:87], s[10:11], -v[76:77]
	v_fma_f64 v[76:77], v[86:87], s[10:11], v[76:77]
	;; [unrolled: 2-line block ×6, first 2 shown]
	v_add_f64 v[44:45], v[2:3], v[54:55]
	v_add_f64 v[46:47], v[0:1], v[84:85]
	;; [unrolled: 1-line block ×21, first 2 shown]
	v_mul_f64 v[60:61], v[122:123], s[30:31]
	v_add_f64 v[38:39], v[46:47], v[38:39]
	v_fma_f64 v[56:57], v[0:1], s[28:29], v[58:59]
	v_fma_f64 v[58:59], v[0:1], s[28:29], -v[58:59]
	s_delay_alu instid0(VALU_DEP_2) | instskip(SKIP_1) | instid1(VALU_DEP_3)
	v_add_f64 v[54:55], v[56:57], v[54:55]
	v_fma_f64 v[56:57], v[125:126], s[28:29], -v[60:61]
	v_add_f64 v[58:59], v[58:59], v[64:65]
	v_fma_f64 v[60:61], v[125:126], s[28:29], v[60:61]
	v_fma_f64 v[64:65], v[161:162], s[16:17], v[163:164]
	s_delay_alu instid0(VALU_DEP_4) | instskip(SKIP_1) | instid1(VALU_DEP_4)
	v_add_f64 v[56:57], v[56:57], v[62:63]
	v_mul_f64 v[62:63], v[127:128], s[20:21]
	v_add_f64 v[60:61], v[60:61], v[84:85]
	s_delay_alu instid0(VALU_DEP_2) | instskip(SKIP_1) | instid1(VALU_DEP_2)
	v_fma_f64 v[68:69], v[129:130], s[10:11], v[62:63]
	v_fma_f64 v[62:63], v[129:130], s[10:11], -v[62:63]
	v_add_f64 v[54:55], v[68:69], v[54:55]
	v_mul_f64 v[68:69], v[131:132], s[20:21]
	s_delay_alu instid0(VALU_DEP_3) | instskip(NEXT) | instid1(VALU_DEP_2)
	v_add_f64 v[58:59], v[62:63], v[58:59]
	v_fma_f64 v[70:71], v[133:134], s[10:11], -v[68:69]
	v_fma_f64 v[62:63], v[133:134], s[10:11], v[68:69]
	v_mul_f64 v[68:69], v[114:115], s[36:37]
	s_delay_alu instid0(VALU_DEP_3) | instskip(SKIP_1) | instid1(VALU_DEP_4)
	v_add_f64 v[56:57], v[70:71], v[56:57]
	v_mul_f64 v[70:71], v[135:136], s[40:41]
	v_add_f64 v[60:61], v[62:63], v[60:61]
	s_delay_alu instid0(VALU_DEP_2) | instskip(SKIP_2) | instid1(VALU_DEP_3)
	v_fma_f64 v[72:73], v[137:138], s[12:13], v[70:71]
	v_fma_f64 v[62:63], v[137:138], s[12:13], -v[70:71]
	v_mul_f64 v[70:71], v[127:128], s[26:27]
	v_add_f64 v[54:55], v[72:73], v[54:55]
	v_mul_f64 v[72:73], v[139:140], s[40:41]
	s_delay_alu instid0(VALU_DEP_4) | instskip(NEXT) | instid1(VALU_DEP_2)
	v_add_f64 v[58:59], v[62:63], v[58:59]
	v_fma_f64 v[74:75], v[141:142], s[12:13], -v[72:73]
	v_fma_f64 v[62:63], v[141:142], s[12:13], v[72:73]
	v_fma_f64 v[72:73], v[129:130], s[12:13], v[70:71]
	v_fma_f64 v[70:71], v[129:130], s[12:13], -v[70:71]
	s_delay_alu instid0(VALU_DEP_4) | instskip(SKIP_2) | instid1(VALU_DEP_2)
	v_add_f64 v[56:57], v[74:75], v[56:57]
	v_mul_f64 v[74:75], v[143:144], s[22:23]
	v_add_f64 v[60:61], v[62:63], v[60:61]
	v_fma_f64 v[86:87], v[145:146], s[14:15], v[74:75]
	v_fma_f64 v[62:63], v[145:146], s[14:15], -v[74:75]
	s_delay_alu instid0(VALU_DEP_2) | instskip(SKIP_1) | instid1(VALU_DEP_3)
	v_add_f64 v[54:55], v[86:87], v[54:55]
	v_mul_f64 v[86:87], v[147:148], s[22:23]
	v_add_f64 v[58:59], v[62:63], v[58:59]
	s_delay_alu instid0(VALU_DEP_2) | instskip(SKIP_1) | instid1(VALU_DEP_2)
	v_fma_f64 v[62:63], v[149:150], s[14:15], v[86:87]
	v_fma_f64 v[151:152], v[149:150], s[14:15], -v[86:87]
	v_add_f64 v[62:63], v[62:63], v[60:61]
	v_fma_f64 v[60:61], v[155:156], s[16:17], -v[157:158]
	s_delay_alu instid0(VALU_DEP_3) | instskip(SKIP_2) | instid1(VALU_DEP_4)
	v_add_f64 v[151:152], v[151:152], v[56:57]
	v_fma_f64 v[56:57], v[155:156], s[16:17], v[157:158]
	v_mul_f64 v[157:158], v[153:154], s[22:23]
	v_add_f64 v[60:61], v[60:61], v[58:59]
	v_add_f64 v[58:59], v[64:65], v[62:63]
	v_fma_f64 v[62:63], v[0:1], s[16:17], v[68:69]
	v_fma_f64 v[68:69], v[0:1], s[16:17], -v[68:69]
	v_add_f64 v[56:57], v[56:57], v[54:55]
	v_fma_f64 v[54:55], v[161:162], s[16:17], -v[163:164]
	v_mul_f64 v[163:164], v[159:160], s[22:23]
	v_add_f64 v[62:63], v[62:63], v[66:67]
	v_mul_f64 v[66:67], v[122:123], s[36:37]
	v_add_f64 v[68:69], v[68:69], v[90:91]
	v_add_f64 v[54:55], v[54:55], v[151:152]
	v_mul_f64 v[90:91], v[131:132], s[30:31]
	v_add_f64 v[62:63], v[72:73], v[62:63]
	v_fma_f64 v[64:65], v[125:126], s[16:17], -v[66:67]
	v_mul_f64 v[72:73], v[131:132], s[26:27]
	v_fma_f64 v[66:67], v[125:126], s[16:17], v[66:67]
	v_add_f64 v[68:69], v[70:71], v[68:69]
	s_delay_alu instid0(VALU_DEP_4) | instskip(NEXT) | instid1(VALU_DEP_4)
	v_add_f64 v[64:65], v[64:65], v[88:89]
	v_fma_f64 v[74:75], v[133:134], s[12:13], -v[72:73]
	s_delay_alu instid0(VALU_DEP_4) | instskip(SKIP_2) | instid1(VALU_DEP_4)
	v_add_f64 v[66:67], v[66:67], v[76:77]
	v_fma_f64 v[70:71], v[133:134], s[12:13], v[72:73]
	v_fma_f64 v[72:73], v[161:162], s[14:15], v[163:164]
	v_add_f64 v[64:65], v[74:75], v[64:65]
	v_mul_f64 v[74:75], v[135:136], s[42:43]
	s_delay_alu instid0(VALU_DEP_4) | instskip(NEXT) | instid1(VALU_DEP_2)
	v_add_f64 v[66:67], v[70:71], v[66:67]
	v_fma_f64 v[84:85], v[137:138], s[4:5], v[74:75]
	v_fma_f64 v[70:71], v[137:138], s[4:5], -v[74:75]
	s_delay_alu instid0(VALU_DEP_2) | instskip(SKIP_1) | instid1(VALU_DEP_3)
	v_add_f64 v[62:63], v[84:85], v[62:63]
	v_mul_f64 v[84:85], v[139:140], s[42:43]
	v_add_f64 v[68:69], v[70:71], v[68:69]
	s_delay_alu instid0(VALU_DEP_2) | instskip(SKIP_2) | instid1(VALU_DEP_3)
	v_fma_f64 v[86:87], v[141:142], s[4:5], -v[84:85]
	v_fma_f64 v[70:71], v[141:142], s[4:5], v[84:85]
	v_mul_f64 v[84:85], v[114:115], s[38:39]
	v_add_f64 v[64:65], v[86:87], v[64:65]
	v_mul_f64 v[86:87], v[143:144], s[30:31]
	s_delay_alu instid0(VALU_DEP_4) | instskip(NEXT) | instid1(VALU_DEP_2)
	v_add_f64 v[66:67], v[70:71], v[66:67]
	v_fma_f64 v[88:89], v[145:146], s[28:29], v[86:87]
	v_fma_f64 v[70:71], v[145:146], s[28:29], -v[86:87]
	v_mul_f64 v[86:87], v[122:123], s[38:39]
	s_delay_alu instid0(VALU_DEP_3) | instskip(SKIP_1) | instid1(VALU_DEP_4)
	v_add_f64 v[62:63], v[88:89], v[62:63]
	v_mul_f64 v[88:89], v[147:148], s[30:31]
	v_add_f64 v[68:69], v[70:71], v[68:69]
	s_delay_alu instid0(VALU_DEP_2) | instskip(SKIP_2) | instid1(VALU_DEP_3)
	v_fma_f64 v[70:71], v[149:150], s[28:29], v[88:89]
	v_fma_f64 v[151:152], v[149:150], s[28:29], -v[88:89]
	v_mul_f64 v[88:89], v[127:128], s[30:31]
	v_add_f64 v[66:67], v[70:71], v[66:67]
	v_fma_f64 v[70:71], v[155:156], s[14:15], -v[157:158]
	s_delay_alu instid0(VALU_DEP_3)
	v_fma_f64 v[74:75], v[129:130], s[28:29], v[88:89]
	v_add_f64 v[151:152], v[151:152], v[64:65]
	v_fma_f64 v[64:65], v[155:156], s[14:15], v[157:158]
	v_mul_f64 v[157:158], v[147:148], s[42:43]
	v_add_f64 v[66:67], v[72:73], v[66:67]
	v_add_f64 v[68:69], v[70:71], v[68:69]
	v_fma_f64 v[70:71], v[0:1], s[10:11], v[84:85]
	v_fma_f64 v[72:73], v[125:126], s[10:11], -v[86:87]
	v_add_f64 v[64:65], v[64:65], v[62:63]
	v_fma_f64 v[62:63], v[161:162], s[14:15], -v[163:164]
	v_mul_f64 v[163:164], v[153:154], s[40:41]
	v_add_f64 v[70:71], v[70:71], v[92:93]
	v_add_f64 v[72:73], v[72:73], v[94:95]
	v_mul_f64 v[92:93], v[135:136], s[24:25]
	v_mul_f64 v[94:95], v[139:140], s[24:25]
	v_add_f64 v[62:63], v[62:63], v[151:152]
	v_mul_f64 v[151:152], v[143:144], s[42:43]
	v_add_f64 v[70:71], v[74:75], v[70:71]
	v_fma_f64 v[74:75], v[133:134], s[28:29], -v[90:91]
	s_delay_alu instid0(VALU_DEP_1) | instskip(SKIP_1) | instid1(VALU_DEP_1)
	v_add_f64 v[72:73], v[74:75], v[72:73]
	v_fma_f64 v[74:75], v[137:138], s[16:17], v[92:93]
	v_add_f64 v[70:71], v[74:75], v[70:71]
	v_fma_f64 v[74:75], v[141:142], s[16:17], -v[94:95]
	s_delay_alu instid0(VALU_DEP_1) | instskip(SKIP_1) | instid1(VALU_DEP_1)
	v_add_f64 v[72:73], v[74:75], v[72:73]
	v_fma_f64 v[74:75], v[145:146], s[4:5], v[151:152]
	;; [unrolled: 5-line block ×3, first 2 shown]
	v_add_f64 v[72:73], v[72:73], v[70:71]
	v_fma_f64 v[70:71], v[161:162], s[12:13], -v[165:166]
	s_delay_alu instid0(VALU_DEP_1) | instskip(SKIP_1) | instid1(VALU_DEP_1)
	v_add_f64 v[70:71], v[70:71], v[74:75]
	v_fma_f64 v[74:75], v[0:1], s[14:15], -v[167:168]
	v_add_f64 v[74:75], v[74:75], v[112:113]
	v_mul_f64 v[112:113], v[122:123], s[22:23]
	s_delay_alu instid0(VALU_DEP_1) | instskip(NEXT) | instid1(VALU_DEP_1)
	v_fma_f64 v[76:77], v[125:126], s[14:15], v[112:113]
	v_add_f64 v[76:77], v[76:77], v[82:83]
	v_fma_f64 v[82:83], v[129:130], s[4:5], -v[169:170]
	s_delay_alu instid0(VALU_DEP_1) | instskip(SKIP_1) | instid1(VALU_DEP_1)
	v_add_f64 v[74:75], v[82:83], v[74:75]
	v_fma_f64 v[82:83], v[133:134], s[4:5], v[171:172]
	v_add_f64 v[76:77], v[82:83], v[76:77]
	v_fma_f64 v[82:83], v[137:138], s[10:11], -v[173:174]
	s_delay_alu instid0(VALU_DEP_1) | instskip(SKIP_1) | instid1(VALU_DEP_1)
	v_add_f64 v[74:75], v[82:83], v[74:75]
	;; [unrolled: 5-line block ×9, first 2 shown]
	v_fma_f64 v[78:79], v[161:162], s[10:11], v[203:204]
	v_add_f64 v[78:79], v[78:79], v[82:83]
	v_fma_f64 v[82:83], v[0:1], s[10:11], -v[84:85]
	v_fma_f64 v[84:85], v[125:126], s[10:11], v[86:87]
	v_fma_f64 v[86:87], v[129:130], s[28:29], -v[88:89]
	v_fma_f64 v[88:89], v[161:162], s[12:13], v[165:166]
	s_delay_alu instid0(VALU_DEP_4) | instskip(NEXT) | instid1(VALU_DEP_4)
	v_add_f64 v[82:83], v[82:83], v[104:105]
	v_add_f64 v[84:85], v[84:85], v[106:107]
	v_mul_f64 v[104:105], v[122:123], s[26:27]
	v_mul_f64 v[106:107], v[131:132], s[24:25]
	;; [unrolled: 1-line block ×3, first 2 shown]
	v_add_f64 v[82:83], v[86:87], v[82:83]
	v_fma_f64 v[86:87], v[133:134], s[28:29], v[90:91]
	v_fma_f64 v[90:91], v[129:130], s[14:15], v[189:190]
	s_delay_alu instid0(VALU_DEP_2) | instskip(SKIP_2) | instid1(VALU_DEP_2)
	v_add_f64 v[84:85], v[86:87], v[84:85]
	v_fma_f64 v[86:87], v[137:138], s[16:17], -v[92:93]
	v_fma_f64 v[92:93], v[161:162], s[10:11], -v[203:204]
	v_add_f64 v[82:83], v[86:87], v[82:83]
	v_fma_f64 v[86:87], v[141:142], s[16:17], v[94:95]
	v_fma_f64 v[94:95], v[129:130], s[4:5], v[169:170]
	s_delay_alu instid0(VALU_DEP_2) | instskip(SKIP_1) | instid1(VALU_DEP_1)
	v_add_f64 v[84:85], v[86:87], v[84:85]
	v_fma_f64 v[86:87], v[145:146], s[4:5], -v[151:152]
	v_add_f64 v[82:83], v[86:87], v[82:83]
	v_fma_f64 v[86:87], v[149:150], s[4:5], v[157:158]
	s_delay_alu instid0(VALU_DEP_1) | instskip(SKIP_1) | instid1(VALU_DEP_1)
	v_add_f64 v[86:87], v[86:87], v[84:85]
	v_fma_f64 v[84:85], v[155:156], s[12:13], -v[163:164]
	v_add_f64 v[84:85], v[84:85], v[82:83]
	s_delay_alu instid0(VALU_DEP_3) | instskip(SKIP_2) | instid1(VALU_DEP_2)
	v_add_f64 v[82:83], v[88:89], v[86:87]
	v_fma_f64 v[86:87], v[0:1], s[4:5], v[185:186]
	v_fma_f64 v[88:89], v[125:126], s[4:5], -v[187:188]
	v_add_f64 v[86:87], v[86:87], v[108:109]
	s_delay_alu instid0(VALU_DEP_2) | instskip(SKIP_2) | instid1(VALU_DEP_4)
	v_add_f64 v[88:89], v[88:89], v[96:97]
	v_fma_f64 v[96:97], v[161:162], s[28:29], -v[183:184]
	v_mul_f64 v[108:109], v[135:136], s[22:23]
	v_add_f64 v[86:87], v[90:91], v[86:87]
	v_fma_f64 v[90:91], v[133:134], s[14:15], -v[191:192]
	s_delay_alu instid0(VALU_DEP_1) | instskip(SKIP_1) | instid1(VALU_DEP_1)
	v_add_f64 v[88:89], v[90:91], v[88:89]
	v_fma_f64 v[90:91], v[137:138], s[28:29], v[193:194]
	v_add_f64 v[86:87], v[90:91], v[86:87]
	v_fma_f64 v[90:91], v[141:142], s[28:29], -v[195:196]
	s_delay_alu instid0(VALU_DEP_1) | instskip(SKIP_1) | instid1(VALU_DEP_1)
	v_add_f64 v[88:89], v[90:91], v[88:89]
	v_fma_f64 v[90:91], v[145:146], s[12:13], v[197:198]
	;; [unrolled: 5-line block ×3, first 2 shown]
	v_add_f64 v[88:89], v[88:89], v[86:87]
	s_delay_alu instid0(VALU_DEP_3) | instskip(SKIP_3) | instid1(VALU_DEP_3)
	v_add_f64 v[86:87], v[92:93], v[90:91]
	v_fma_f64 v[90:91], v[0:1], s[14:15], v[167:168]
	v_fma_f64 v[92:93], v[125:126], s[14:15], -v[112:113]
	v_mul_f64 v[112:113], v[143:144], s[20:21]
	v_add_f64 v[90:91], v[90:91], v[110:111]
	s_delay_alu instid0(VALU_DEP_3)
	v_add_f64 v[92:93], v[92:93], v[98:99]
	v_mul_f64 v[98:99], v[114:115], s[26:27]
	v_mul_f64 v[110:111], v[139:140], s[22:23]
	;; [unrolled: 1-line block ×3, first 2 shown]
	v_add_f64 v[90:91], v[94:95], v[90:91]
	v_fma_f64 v[94:95], v[133:134], s[4:5], -v[171:172]
	s_delay_alu instid0(VALU_DEP_1) | instskip(SKIP_1) | instid1(VALU_DEP_1)
	v_add_f64 v[92:93], v[94:95], v[92:93]
	v_fma_f64 v[94:95], v[137:138], s[10:11], v[173:174]
	v_add_f64 v[90:91], v[94:95], v[90:91]
	v_fma_f64 v[94:95], v[141:142], s[10:11], -v[175:176]
	s_delay_alu instid0(VALU_DEP_1) | instskip(SKIP_1) | instid1(VALU_DEP_1)
	v_add_f64 v[92:93], v[94:95], v[92:93]
	v_fma_f64 v[94:95], v[145:146], s[16:17], v[177:178]
	;; [unrolled: 5-line block ×3, first 2 shown]
	v_add_f64 v[92:93], v[92:93], v[90:91]
	s_delay_alu instid0(VALU_DEP_3) | instskip(SKIP_2) | instid1(VALU_DEP_2)
	v_add_f64 v[90:91], v[96:97], v[94:95]
	v_fma_f64 v[94:95], v[0:1], s[12:13], -v[98:99]
	v_fma_f64 v[0:1], v[0:1], s[12:13], v[98:99]
	v_add_f64 v[2:3], v[94:95], v[2:3]
	v_fma_f64 v[94:95], v[125:126], s[12:13], v[104:105]
	s_delay_alu instid0(VALU_DEP_3) | instskip(NEXT) | instid1(VALU_DEP_2)
	v_add_f64 v[0:1], v[0:1], v[48:49]
	v_add_f64 v[94:95], v[94:95], v[102:103]
	v_mul_f64 v[102:103], v[127:128], s[24:25]
	v_mul_f64 v[127:128], v[159:160], s[18:19]
	s_delay_alu instid0(VALU_DEP_2) | instskip(NEXT) | instid1(VALU_DEP_1)
	v_fma_f64 v[96:97], v[129:130], s[16:17], -v[102:103]
	v_add_f64 v[2:3], v[96:97], v[2:3]
	v_fma_f64 v[96:97], v[133:134], s[16:17], v[106:107]
	s_delay_alu instid0(VALU_DEP_1) | instskip(SKIP_1) | instid1(VALU_DEP_1)
	v_add_f64 v[94:95], v[96:97], v[94:95]
	v_fma_f64 v[96:97], v[137:138], s[14:15], -v[108:109]
	v_add_f64 v[2:3], v[96:97], v[2:3]
	v_fma_f64 v[96:97], v[141:142], s[14:15], v[110:111]
	s_delay_alu instid0(VALU_DEP_1) | instskip(SKIP_1) | instid1(VALU_DEP_1)
	v_add_f64 v[94:95], v[96:97], v[94:95]
	;; [unrolled: 5-line block ×4, first 2 shown]
	v_add_f64 v[2:3], v[44:45], v[52:53]
	v_add_f64 v[2:3], v[2:3], v[30:31]
	;; [unrolled: 1-line block ×3, first 2 shown]
	s_delay_alu instid0(VALU_DEP_2) | instskip(NEXT) | instid1(VALU_DEP_2)
	v_add_f64 v[2:3], v[2:3], v[26:27]
	v_add_f64 v[22:23], v[30:31], v[22:23]
	s_delay_alu instid0(VALU_DEP_2) | instskip(NEXT) | instid1(VALU_DEP_2)
	v_add_f64 v[2:3], v[2:3], v[34:35]
	v_add_f64 v[22:23], v[22:23], v[42:43]
	;; [unrolled: 3-line block ×4, first 2 shown]
	v_fma_f64 v[14:15], v[141:142], s[14:15], -v[110:111]
	s_delay_alu instid0(VALU_DEP_3) | instskip(NEXT) | instid1(VALU_DEP_3)
	v_add_f64 v[2:3], v[2:3], v[20:21]
	v_add_f64 v[12:13], v[12:13], v[32:33]
	s_delay_alu instid0(VALU_DEP_2) | instskip(NEXT) | instid1(VALU_DEP_2)
	v_add_f64 v[2:3], v[2:3], v[10:11]
	v_add_f64 v[8:9], v[12:13], v[8:9]
	v_fma_f64 v[10:11], v[133:134], s[16:17], -v[106:107]
	v_fma_f64 v[12:13], v[137:138], s[14:15], v[108:109]
	s_delay_alu instid0(VALU_DEP_4) | instskip(NEXT) | instid1(VALU_DEP_4)
	v_add_f64 v[2:3], v[2:3], v[16:17]
	v_add_f64 v[8:9], v[8:9], v[24:25]
	s_delay_alu instid0(VALU_DEP_2) | instskip(NEXT) | instid1(VALU_DEP_2)
	v_add_f64 v[2:3], v[2:3], v[18:19]
	v_add_f64 v[8:9], v[8:9], v[4:5]
	s_delay_alu instid0(VALU_DEP_2) | instskip(NEXT) | instid1(VALU_DEP_2)
	v_add_f64 v[4:5], v[2:3], v[28:29]
	v_add_f64 v[2:3], v[8:9], v[6:7]
	v_fma_f64 v[6:7], v[125:126], s[12:13], -v[104:105]
	v_fma_f64 v[8:9], v[129:130], s[16:17], v[102:103]
	s_delay_alu instid0(VALU_DEP_2) | instskip(NEXT) | instid1(VALU_DEP_2)
	v_add_f64 v[6:7], v[6:7], v[50:51]
	v_add_f64 v[0:1], v[8:9], v[0:1]
	v_fma_f64 v[8:9], v[145:146], s[10:11], v[112:113]
	s_delay_alu instid0(VALU_DEP_3) | instskip(SKIP_1) | instid1(VALU_DEP_4)
	v_add_f64 v[6:7], v[10:11], v[6:7]
	v_fma_f64 v[10:11], v[149:150], s[10:11], -v[114:115]
	v_add_f64 v[0:1], v[12:13], v[0:1]
	v_fma_f64 v[12:13], v[155:156], s[4:5], v[122:123]
	s_delay_alu instid0(VALU_DEP_4) | instskip(SKIP_1) | instid1(VALU_DEP_4)
	v_add_f64 v[6:7], v[14:15], v[6:7]
	v_fma_f64 v[14:15], v[161:162], s[4:5], -v[127:128]
	v_add_f64 v[0:1], v[8:9], v[0:1]
	s_delay_alu instid0(VALU_DEP_3) | instskip(NEXT) | instid1(VALU_DEP_2)
	v_add_f64 v[6:7], v[10:11], v[6:7]
	v_add_f64 v[8:9], v[12:13], v[0:1]
	v_add_nc_u32_e32 v0, 52, v118
	s_delay_alu instid0(VALU_DEP_1) | instskip(NEXT) | instid1(VALU_DEP_1)
	v_lshrrev_b32_e32 v0, 2, v0
	v_mul_u32_u24_e32 v0, 52, v0
	s_delay_alu instid0(VALU_DEP_1) | instskip(NEXT) | instid1(VALU_DEP_1)
	v_or_b32_e32 v0, v0, v119
	v_lshl_add_u32 v0, v0, 4, 0
	v_add_f64 v[6:7], v[14:15], v[6:7]
	ds_store_b128 v0, v[74:77] offset:128
	ds_store_b128 v0, v[78:81] offset:192
	;; [unrolled: 1-line block ×11, first 2 shown]
	ds_store_b128 v0, v[2:5]
	ds_store_b128 v0, v[6:9] offset:768
.LBB0_23:
	s_or_b32 exec_lo, exec_lo, s1
	s_waitcnt lgkmcnt(0)
	s_barrier
	buffer_gl0_inv
	scratch_load_b64 v[2:3], off, off       ; 8-byte Folded Reload
	v_add_nc_u32_e32 v5, 0x9c, v118
	v_and_b32_e32 v0, 0xff, v255
	v_add_nc_u32_e32 v150, 0x104, v118
	v_add_nc_u32_e32 v127, 0x138, v118
	;; [unrolled: 1-line block ×3, first 2 shown]
	v_and_b32_e32 v1, 0xff, v5
	v_mul_lo_u16 v0, 0x4f, v0
	v_add_nc_u32_e32 v151, 0x16c, v118
	v_and_b32_e32 v4, 0xffff, v127
	v_add_nc_u32_e32 v7, 0x1a0, v118
	v_mul_lo_u16 v1, 0x4f, v1
	v_lshrrev_b16 v0, 12, v0
	v_add_nc_u32_e32 v6, 0x1d4, v118
	v_mul_u32_u24_e32 v102, 0x4ec5, v4
	v_add_nc_u32_e32 v32, 0x23c, v118
	v_lshrrev_b16 v1, 12, v1
	v_mul_lo_u16 v0, v0, 52
	s_mov_b32 s4, 0xe8584caa
	v_lshrrev_b32_e32 v4, 20, v102
	s_mov_b32 s5, 0xbfebb67a
	v_mul_lo_u16 v1, v1, 52
	v_sub_nc_u16 v0, v255, v0
	s_mov_b32 s1, 0x3febb67a
	v_mul_lo_u16 v4, v4, 52
	s_delay_alu instid0(VALU_DEP_3) | instskip(NEXT) | instid1(VALU_DEP_3)
	v_sub_nc_u16 v1, v5, v1
	v_and_b32_e32 v0, 0xff, v0
	v_add_nc_u32_e32 v5, 0x208, v118
	s_delay_alu instid0(VALU_DEP_4) | instskip(NEXT) | instid1(VALU_DEP_4)
	v_sub_nc_u16 v4, v127, v4
	v_and_b32_e32 v1, 0xff, v1
	s_delay_alu instid0(VALU_DEP_4) | instskip(NEXT) | instid1(VALU_DEP_2)
	v_lshlrev_b32_e32 v97, 4, v0
	v_lshlrev_b32_e32 v98, 4, v1
	s_delay_alu instid0(VALU_DEP_4) | instskip(NEXT) | instid1(VALU_DEP_1)
	v_and_b32_e32 v1, 0xffff, v4
	v_lshlrev_b32_e32 v101, 4, v1
	v_and_b32_e32 v1, 0xffff, v7
	s_delay_alu instid0(VALU_DEP_1) | instskip(NEXT) | instid1(VALU_DEP_1)
	v_mul_u32_u24_e32 v1, 0x4ec5, v1
	v_lshrrev_b32_e32 v1, 20, v1
	s_delay_alu instid0(VALU_DEP_1) | instskip(NEXT) | instid1(VALU_DEP_1)
	v_mul_lo_u16 v1, v1, 52
	v_sub_nc_u16 v1, v7, v1
	s_delay_alu instid0(VALU_DEP_1) | instskip(NEXT) | instid1(VALU_DEP_1)
	v_and_b32_e32 v1, 0xffff, v1
	v_lshlrev_b32_e32 v106, 4, v1
	s_waitcnt vmcnt(0)
	v_add_co_u32 v112, s0, s8, v2
	s_delay_alu instid0(VALU_DEP_1)
	v_add_co_ci_u32_e64 v113, s0, s9, v3, s0
	v_and_b32_e32 v3, 0xffff, v150
	v_and_b32_e32 v2, 0xffff, v152
	s_clause 0x1
	global_load_b128 v[8:11], v[112:113], off offset:800
	global_load_b128 v[12:15], v97, s[8:9] offset:800
	v_add_nc_u32_e32 v97, 0, v97
	v_mul_u32_u24_e32 v103, 0x4ec5, v3
	v_mul_u32_u24_e32 v104, 0x4ec5, v2
	s_delay_alu instid0(VALU_DEP_2) | instskip(NEXT) | instid1(VALU_DEP_2)
	v_lshrrev_b32_e32 v3, 20, v103
	v_lshrrev_b32_e32 v2, 20, v104
	v_lshrrev_b32_e32 v104, 21, v104
	v_lshrrev_b32_e32 v119, 21, v103
	s_delay_alu instid0(VALU_DEP_4) | instskip(NEXT) | instid1(VALU_DEP_4)
	v_mul_lo_u16 v3, v3, 52
	v_mul_lo_u16 v2, v2, 52
	s_delay_alu instid0(VALU_DEP_4) | instskip(NEXT) | instid1(VALU_DEP_3)
	v_mul_lo_u16 v104, 0x68, v104
	v_sub_nc_u16 v3, v150, v3
	s_delay_alu instid0(VALU_DEP_3) | instskip(NEXT) | instid1(VALU_DEP_2)
	v_sub_nc_u16 v2, v152, v2
	v_and_b32_e32 v0, 0xffff, v3
	s_delay_alu instid0(VALU_DEP_2) | instskip(SKIP_1) | instid1(VALU_DEP_3)
	v_and_b32_e32 v2, 0xffff, v2
	v_and_b32_e32 v3, 0xffff, v32
	v_lshlrev_b32_e32 v100, 4, v0
	v_and_b32_e32 v0, 0xffff, v151
	s_delay_alu instid0(VALU_DEP_4)
	v_lshlrev_b32_e32 v99, 4, v2
	v_and_b32_e32 v2, 0xffff, v6
	v_mul_u32_u24_e32 v3, 0x4ec5, v3
	s_clause 0x1
	global_load_b128 v[16:19], v98, s[8:9] offset:800
	global_load_b128 v[20:23], v99, s[8:9] offset:800
	v_mul_u32_u24_e32 v96, 0x4ec5, v0
	v_and_b32_e32 v0, 0xffff, v5
	v_mul_u32_u24_e32 v2, 0x4ec5, v2
	v_lshrrev_b32_e32 v3, 20, v3
	s_clause 0x1
	global_load_b128 v[24:27], v100, s[8:9] offset:800
	global_load_b128 v[28:31], v101, s[8:9] offset:800
	v_lshrrev_b32_e32 v4, 20, v96
	v_mul_u32_u24_e32 v0, 0x4ec5, v0
	v_lshrrev_b32_e32 v2, 20, v2
	v_mul_lo_u16 v3, v3, 52
	v_add_nc_u32_e32 v98, 0, v98
	v_mul_lo_u16 v4, v4, 52
	v_lshrrev_b32_e32 v0, 20, v0
	v_mul_lo_u16 v2, v2, 52
	v_sub_nc_u16 v3, v32, v3
	v_add_nc_u32_e32 v99, 0, v99
	v_sub_nc_u16 v4, v151, v4
	v_mul_lo_u16 v0, v0, 52
	v_sub_nc_u16 v2, v6, v2
	v_and_b32_e32 v1, 0xffff, v3
	v_add_nc_u32_e32 v100, 0, v100
	v_and_b32_e32 v4, 0xffff, v4
	v_sub_nc_u16 v0, v5, v0
	v_and_b32_e32 v2, 0xffff, v2
	v_lshlrev_b32_e32 v109, 4, v1
	global_load_b128 v[36:39], v106, s[8:9] offset:800
	v_lshlrev_b32_e32 v105, 4, v4
	v_and_b32_e32 v0, 0xffff, v0
	v_lshlrev_b32_e32 v107, 4, v2
	v_add_nc_u32_e32 v101, 0, v101
	v_add_nc_u32_e32 v106, 0, v106
	global_load_b128 v[32:35], v105, s[8:9] offset:800
	v_lshlrev_b32_e32 v108, 4, v0
	s_clause 0x2
	global_load_b128 v[40:43], v107, s[8:9] offset:800
	global_load_b128 v[44:47], v108, s[8:9] offset:800
	global_load_b128 v[128:131], v109, s[8:9] offset:800
	ds_load_b128 v[48:51], v252 offset:9984
	ds_load_b128 v[52:55], v252 offset:10816
	;; [unrolled: 1-line block ×12, first 2 shown]
	ds_load_b128 v[4:7], v252
	ds_load_b128 v[0:3], v252 offset:832
	v_add_nc_u32_e32 v105, 0, v105
	v_add_nc_u32_e32 v107, 0, v107
	;; [unrolled: 1-line block ×4, first 2 shown]
	s_waitcnt vmcnt(10) lgkmcnt(13)
	v_mul_f64 v[110:111], v[50:51], v[10:11]
	v_mul_f64 v[114:115], v[48:49], v[10:11]
	s_waitcnt lgkmcnt(12)
	v_mul_f64 v[122:123], v[54:55], v[10:11]
	v_mul_f64 v[10:11], v[52:53], v[10:11]
	s_waitcnt vmcnt(9) lgkmcnt(11)
	v_mul_f64 v[125:126], v[58:59], v[14:15]
	v_mul_f64 v[14:15], v[56:57], v[14:15]
	s_waitcnt vmcnt(8) lgkmcnt(10)
	;; [unrolled: 3-line block ×5, first 2 shown]
	v_mul_f64 v[138:139], v[74:75], v[30:31]
	v_mul_f64 v[30:31], v[72:73], v[30:31]
	v_fma_f64 v[48:49], v[48:49], v[8:9], v[110:111]
	v_fma_f64 v[50:51], v[50:51], v[8:9], -v[114:115]
	v_fma_f64 v[52:53], v[52:53], v[8:9], v[122:123]
	v_fma_f64 v[54:55], v[54:55], v[8:9], -v[10:11]
	;; [unrolled: 2-line block ×3, first 2 shown]
	v_mov_b32_e32 v125, 0
	v_lshrrev_b32_e32 v122, 21, v102
	s_delay_alu instid0(VALU_DEP_2) | instskip(NEXT) | instid1(VALU_DEP_1)
	v_lshlrev_b64 v[110:111], 4, v[124:125]
	v_add_co_u32 v102, s0, s8, v110
	s_waitcnt vmcnt(4) lgkmcnt(5)
	v_mul_f64 v[142:143], v[82:83], v[38:39]
	v_mul_f64 v[38:39], v[80:81], v[38:39]
	s_delay_alu instid0(VALU_DEP_4)
	v_add_co_ci_u32_e64 v103, s0, s9, v111, s0
	s_waitcnt vmcnt(3)
	v_mul_f64 v[140:141], v[78:79], v[34:35]
	v_mul_f64 v[34:35], v[76:77], v[34:35]
	s_waitcnt vmcnt(2) lgkmcnt(4)
	v_mul_f64 v[144:145], v[86:87], v[42:43]
	v_mul_f64 v[42:43], v[84:85], v[42:43]
	s_waitcnt vmcnt(1) lgkmcnt(3)
	v_mul_f64 v[146:147], v[90:91], v[46:47]
	v_mul_f64 v[46:47], v[88:89], v[46:47]
	v_fma_f64 v[60:61], v[60:61], v[16:17], v[132:133]
	v_fma_f64 v[62:63], v[62:63], v[16:17], -v[18:19]
	v_fma_f64 v[64:65], v[64:65], v[20:21], v[134:135]
	v_fma_f64 v[66:67], v[66:67], v[20:21], -v[22:23]
	v_fma_f64 v[68:69], v[68:69], v[24:25], v[136:137]
	v_fma_f64 v[70:71], v[70:71], v[24:25], -v[26:27]
	v_fma_f64 v[72:73], v[72:73], v[28:29], v[138:139]
	v_fma_f64 v[74:75], v[74:75], v[28:29], -v[30:31]
	s_waitcnt vmcnt(0) lgkmcnt(2)
	v_mul_f64 v[148:149], v[94:95], v[130:131]
	v_mul_f64 v[130:131], v[92:93], v[130:131]
	s_waitcnt lgkmcnt(1)
	v_add_f64 v[48:49], v[4:5], -v[48:49]
	v_add_f64 v[50:51], v[6:7], -v[50:51]
	s_waitcnt lgkmcnt(0)
	v_add_f64 v[52:53], v[0:1], -v[52:53]
	v_add_f64 v[54:55], v[2:3], -v[54:55]
	v_fma_f64 v[80:81], v[80:81], v[36:37], v[142:143]
	v_fma_f64 v[82:83], v[82:83], v[36:37], -v[38:39]
	v_fma_f64 v[76:77], v[76:77], v[32:33], v[140:141]
	v_fma_f64 v[78:79], v[78:79], v[32:33], -v[34:35]
	;; [unrolled: 2-line block ×4, first 2 shown]
	ds_load_b128 v[40:43], v252 offset:1664
	ds_load_b128 v[44:47], v252 offset:2496
	;; [unrolled: 1-line block ×10, first 2 shown]
	scratch_load_b64 v[114:115], off, off offset:16 ; 8-byte Folded Reload
	s_waitcnt vmcnt(0)
	v_mov_b32_e32 v115, v125
	s_waitcnt lgkmcnt(0)
	s_barrier
	buffer_gl0_inv
	v_fma_f64 v[92:93], v[92:93], v[128:129], v[148:149]
	v_fma_f64 v[94:95], v[94:95], v[128:129], -v[130:131]
	v_fma_f64 v[4:5], v[4:5], 2.0, -v[48:49]
	v_fma_f64 v[6:7], v[6:7], 2.0, -v[50:51]
	;; [unrolled: 1-line block ×3, first 2 shown]
	v_add_f64 v[60:61], v[44:45], -v[60:61]
	v_add_f64 v[62:63], v[46:47], -v[62:63]
	;; [unrolled: 1-line block ×10, first 2 shown]
	v_fma_f64 v[2:3], v[2:3], 2.0, -v[54:55]
	v_add_f64 v[80:81], v[20:21], -v[80:81]
	v_add_f64 v[82:83], v[22:23], -v[82:83]
	v_add_f64 v[76:77], v[24:25], -v[76:77]
	v_add_f64 v[78:79], v[26:27], -v[78:79]
	v_add_f64 v[84:85], v[16:17], -v[84:85]
	v_add_f64 v[86:87], v[18:19], -v[86:87]
	v_add_f64 v[88:89], v[12:13], -v[88:89]
	v_add_f64 v[90:91], v[14:15], -v[90:91]
	v_add_f64 v[92:93], v[8:9], -v[92:93]
	v_add_f64 v[94:95], v[10:11], -v[94:95]
	v_fma_f64 v[44:45], v[44:45], 2.0, -v[60:61]
	v_fma_f64 v[46:47], v[46:47], 2.0, -v[62:63]
	;; [unrolled: 1-line block ×20, first 2 shown]
	ds_store_b128 v252, v[4:7]
	ds_store_b128 v252, v[48:51] offset:832
	ds_store_b128 v252, v[0:3] offset:1664
	;; [unrolled: 1-line block ×23, first 2 shown]
	v_mul_lo_u16 v17, 0x68, v119
	v_lshrrev_b32_e32 v16, 21, v96
	v_sub_nc_u16 v18, v152, v104
	v_mul_lo_u16 v19, 0x68, v122
	s_waitcnt lgkmcnt(0)
	v_sub_nc_u16 v17, v150, v17
	v_mul_lo_u16 v16, 0x68, v16
	v_and_b32_e32 v123, 0xffff, v18
	s_barrier
	buffer_gl0_inv
	s_clause 0x1
	global_load_b128 v[0:3], v[102:103], off offset:1648
	global_load_b128 v[4:7], v[102:103], off offset:1632
	v_sub_nc_u16 v18, v127, v19
	v_and_b32_e32 v124, 0xffff, v17
	v_lshlrev_b32_e32 v17, 5, v123
	v_sub_nc_u16 v16, v151, v16
	s_delay_alu instid0(VALU_DEP_4) | instskip(NEXT) | instid1(VALU_DEP_4)
	v_and_b32_e32 v164, 0xffff, v18
	v_lshlrev_b32_e32 v18, 5, v124
	s_delay_alu instid0(VALU_DEP_3) | instskip(NEXT) | instid1(VALU_DEP_3)
	v_and_b32_e32 v165, 0xffff, v16
	v_lshlrev_b32_e32 v16, 5, v164
	s_delay_alu instid0(VALU_DEP_2) | instskip(SKIP_1) | instid1(VALU_DEP_1)
	v_lshlrev_b32_e32 v40, 5, v165
	v_lshlrev_b64 v[114:115], 4, v[114:115]
	v_add_co_u32 v110, s0, s8, v114
	s_delay_alu instid0(VALU_DEP_1)
	v_add_co_ci_u32_e64 v111, s0, s9, v115, s0
	s_clause 0x9
	global_load_b128 v[8:11], v[110:111], off offset:1648
	global_load_b128 v[12:15], v[110:111], off offset:1632
	global_load_b128 v[32:35], v17, s[8:9] offset:1632
	global_load_b128 v[20:23], v17, s[8:9] offset:1648
	;; [unrolled: 1-line block ×8, first 2 shown]
	ds_load_b128 v[56:59], v252 offset:6656
	ds_load_b128 v[52:55], v252 offset:13312
	;; [unrolled: 1-line block ×16, first 2 shown]
	scratch_load_b64 v[166:167], off, off offset:8 ; 8-byte Folded Reload
	s_waitcnt vmcnt(12) lgkmcnt(14)
	v_mul_f64 v[152:153], v[54:55], v[2:3]
	s_waitcnt vmcnt(11)
	v_mul_f64 v[148:149], v[58:59], v[6:7]
	v_mul_f64 v[150:151], v[56:57], v[6:7]
	;; [unrolled: 1-line block ×3, first 2 shown]
	s_waitcnt lgkmcnt(11)
	v_mul_f64 v[114:115], v[106:107], v[6:7]
	v_mul_f64 v[6:7], v[104:105], v[6:7]
	s_waitcnt lgkmcnt(9)
	v_mul_f64 v[126:127], v[110:111], v[2:3]
	v_mul_f64 v[2:3], v[108:109], v[2:3]
	v_fma_f64 v[152:153], v[52:53], v[0:1], v[152:153]
	v_fma_f64 v[148:149], v[56:57], v[4:5], v[148:149]
	v_fma_f64 v[150:151], v[58:59], v[4:5], -v[150:151]
	v_fma_f64 v[154:155], v[54:55], v[0:1], -v[154:155]
	v_fma_f64 v[104:105], v[104:105], v[4:5], v[114:115]
	v_fma_f64 v[106:107], v[106:107], v[4:5], -v[6:7]
	v_fma_f64 v[108:109], v[108:109], v[0:1], v[126:127]
	v_fma_f64 v[110:111], v[110:111], v[0:1], -v[2:3]
	ds_load_b128 v[52:55], v252
	ds_load_b128 v[56:59], v252 offset:832
	s_waitcnt vmcnt(10)
	v_mul_f64 v[160:161], v[82:83], v[10:11]
	s_waitcnt vmcnt(9)
	v_mul_f64 v[156:157], v[50:51], v[14:15]
	v_mul_f64 v[158:159], v[48:49], v[14:15]
	;; [unrolled: 1-line block ×5, first 2 shown]
	s_waitcnt lgkmcnt(10)
	v_mul_f64 v[130:131], v[102:103], v[10:11]
	v_mul_f64 v[10:11], v[100:101], v[10:11]
	s_waitcnt vmcnt(8) lgkmcnt(9)
	v_mul_f64 v[132:133], v[86:87], v[34:35]
	v_mul_f64 v[34:35], v[84:85], v[34:35]
	s_waitcnt vmcnt(7) lgkmcnt(7)
	v_mul_f64 v[134:135], v[90:91], v[22:23]
	v_mul_f64 v[22:23], v[88:89], v[22:23]
	s_waitcnt vmcnt(6)
	v_mul_f64 v[136:137], v[70:71], v[38:39]
	v_mul_f64 v[38:39], v[68:69], v[38:39]
	s_waitcnt vmcnt(5) lgkmcnt(6)
	v_mul_f64 v[138:139], v[74:75], v[26:27]
	v_mul_f64 v[26:27], v[72:73], v[26:27]
	s_waitcnt vmcnt(4) lgkmcnt(5)
	;; [unrolled: 3-line block ×3, first 2 shown]
	v_mul_f64 v[142:143], v[94:95], v[18:19]
	v_mul_f64 v[18:19], v[92:93], v[18:19]
	s_waitcnt vmcnt(2)
	v_mul_f64 v[144:145], v[62:63], v[46:47]
	v_mul_f64 v[46:47], v[60:61], v[46:47]
	s_waitcnt vmcnt(1) lgkmcnt(2)
	v_mul_f64 v[146:147], v[78:79], v[42:43]
	v_mul_f64 v[42:43], v[76:77], v[42:43]
	s_waitcnt vmcnt(0)
	v_add_co_u32 v119, s0, s8, v166
	s_delay_alu instid0(VALU_DEP_1)
	v_add_co_ci_u32_e64 v122, s0, s9, v167, s0
	s_mov_b32 s0, s4
	v_fma_f64 v[160:161], v[80:81], v[8:9], v[160:161]
	v_fma_f64 v[156:157], v[48:49], v[12:13], v[156:157]
	v_fma_f64 v[158:159], v[50:51], v[12:13], -v[158:159]
	v_fma_f64 v[162:163], v[82:83], v[8:9], -v[162:163]
	v_fma_f64 v[96:97], v[96:97], v[12:13], v[128:129]
	v_fma_f64 v[98:99], v[98:99], v[12:13], -v[14:15]
	v_fma_f64 v[100:101], v[100:101], v[8:9], v[130:131]
	v_fma_f64 v[102:103], v[102:103], v[8:9], -v[10:11]
	v_fma_f64 v[84:85], v[84:85], v[32:33], v[132:133]
	v_fma_f64 v[32:33], v[86:87], v[32:33], -v[34:35]
	v_fma_f64 v[34:35], v[88:89], v[20:21], v[134:135]
	v_fma_f64 v[20:21], v[90:91], v[20:21], -v[22:23]
	v_fma_f64 v[22:23], v[68:69], v[36:37], v[136:137]
	v_fma_f64 v[36:37], v[70:71], v[36:37], -v[38:39]
	v_fma_f64 v[38:39], v[72:73], v[24:25], v[138:139]
	v_fma_f64 v[24:25], v[74:75], v[24:25], -v[26:27]
	v_fma_f64 v[26:27], v[64:65], v[28:29], v[140:141]
	v_fma_f64 v[28:29], v[66:67], v[28:29], -v[30:31]
	v_fma_f64 v[30:31], v[92:93], v[16:17], v[142:143]
	v_fma_f64 v[64:65], v[94:95], v[16:17], -v[18:19]
	v_fma_f64 v[16:17], v[60:61], v[44:45], v[144:145]
	v_fma_f64 v[18:19], v[62:63], v[44:45], -v[46:47]
	v_fma_f64 v[44:45], v[76:77], v[40:41], v[146:147]
	v_fma_f64 v[40:41], v[78:79], v[40:41], -v[42:43]
	ds_load_b128 v[48:51], v252 offset:1664
	ds_load_b128 v[80:83], v252 offset:2496
	v_add_f64 v[46:47], v[148:149], v[152:153]
	v_add_f64 v[66:67], v[150:151], v[154:155]
	;; [unrolled: 1-line block ×4, first 2 shown]
	s_waitcnt lgkmcnt(3)
	v_add_f64 v[42:43], v[52:53], v[148:149]
	v_add_f64 v[60:61], v[150:151], -v[154:155]
	v_add_f64 v[62:63], v[54:55], v[150:151]
	v_add_f64 v[68:69], v[148:149], -v[152:153]
	ds_load_b128 v[0:3], v252 offset:3328
	ds_load_b128 v[4:7], v252 offset:4160
	;; [unrolled: 1-line block ×4, first 2 shown]
	v_add_f64 v[94:95], v[106:107], -v[110:111]
	s_waitcnt lgkmcnt(0)
	s_barrier
	buffer_gl0_inv
	v_add_f64 v[72:73], v[156:157], v[160:161]
	v_add_f64 v[70:71], v[56:57], v[156:157]
	;; [unrolled: 1-line block ×7, first 2 shown]
	v_add_f64 v[134:135], v[98:99], -v[102:103]
	v_add_f64 v[98:99], v[82:83], v[98:99]
	v_add_f64 v[128:129], v[84:85], v[34:35]
	;; [unrolled: 1-line block ×8, first 2 shown]
	v_add_f64 v[146:147], v[32:33], -v[20:21]
	v_add_f64 v[140:141], v[26:27], v[30:31]
	v_add_f64 v[144:145], v[28:29], v[64:65]
	;; [unrolled: 1-line block ×3, first 2 shown]
	v_add_f64 v[74:75], v[158:159], -v[162:163]
	v_add_f64 v[148:149], v[16:17], v[44:45]
	v_add_f64 v[150:151], v[18:19], v[40:41]
	v_add_f64 v[86:87], v[156:157], -v[160:161]
	v_fma_f64 v[46:47], v[46:47], -0.5, v[52:53]
	v_fma_f64 v[52:53], v[66:67], -0.5, v[54:55]
	v_add_f64 v[158:159], v[6:7], v[36:37]
	v_add_f64 v[166:167], v[8:9], v[26:27]
	;; [unrolled: 1-line block ×5, first 2 shown]
	v_add_f64 v[104:105], v[104:105], -v[108:109]
	v_fma_f64 v[66:67], v[92:93], -0.5, v[50:51]
	v_add_f64 v[96:97], v[96:97], -v[100:101]
	v_add_f64 v[84:85], v[84:85], -v[34:35]
	v_add_f64 v[168:169], v[10:11], v[28:29]
	v_add_f64 v[174:175], v[36:37], -v[24:25]
	v_add_f64 v[176:177], v[22:23], -v[38:39]
	v_fma_f64 v[54:55], v[72:73], -0.5, v[56:57]
	v_add_f64 v[178:179], v[28:29], -v[64:65]
	v_fma_f64 v[56:57], v[78:79], -0.5, v[58:59]
	v_fma_f64 v[58:59], v[88:89], -0.5, v[48:49]
	v_add_f64 v[180:181], v[26:27], -v[30:31]
	v_fma_f64 v[72:73], v[114:115], -0.5, v[80:81]
	v_fma_f64 v[78:79], v[126:127], -0.5, v[82:83]
	v_add_f64 v[182:183], v[18:19], -v[40:41]
	v_add_f64 v[184:185], v[16:17], -v[44:45]
	v_fma_f64 v[80:81], v[128:129], -0.5, v[0:1]
	v_add_f64 v[0:1], v[70:71], v[160:161]
	v_fma_f64 v[70:71], v[132:133], -0.5, v[2:3]
	v_add_f64 v[2:3], v[76:77], v[162:163]
	v_fma_f64 v[76:77], v[136:137], -0.5, v[4:5]
	v_fma_f64 v[82:83], v[138:139], -0.5, v[6:7]
	v_add_f64 v[4:5], v[90:91], v[108:109]
	v_add_f64 v[16:17], v[42:43], v[152:153]
	v_fma_f64 v[88:89], v[140:141], -0.5, v[8:9]
	v_fma_f64 v[90:91], v[144:145], -0.5, v[10:11]
	v_add_f64 v[10:11], v[98:99], v[102:103]
	;; [unrolled: 4-line block ×3, first 2 shown]
	v_add_f64 v[8:9], v[130:131], v[100:101]
	v_add_f64 v[12:13], v[142:143], v[34:35]
	;; [unrolled: 1-line block ×3, first 2 shown]
	v_fma_f64 v[32:33], v[60:61], s[4:5], v[46:47]
	v_fma_f64 v[34:35], v[68:69], s[0:1], v[52:53]
	v_add_f64 v[22:23], v[158:159], v[24:25]
	v_add_f64 v[24:25], v[166:167], v[30:31]
	;; [unrolled: 1-line block ×4, first 2 shown]
	v_fma_f64 v[36:37], v[60:61], s[0:1], v[46:47]
	v_fma_f64 v[38:39], v[68:69], s[4:5], v[52:53]
	v_add_f64 v[28:29], v[170:171], v[44:45]
	v_fma_f64 v[50:51], v[104:105], s[0:1], v[66:67]
	v_add_f64 v[26:27], v[168:169], v[64:65]
	v_fma_f64 v[40:41], v[74:75], s[4:5], v[54:55]
	v_fma_f64 v[44:45], v[74:75], s[0:1], v[54:55]
	;; [unrolled: 1-line block ×27, first 2 shown]
	v_add_co_u32 v96, s0, 0x1000, v112
	s_delay_alu instid0(VALU_DEP_1) | instskip(SKIP_1) | instid1(VALU_DEP_1)
	v_add_co_ci_u32_e64 v97, s0, 0, v113, s0
	v_add_co_u32 v98, s0, 0x1000, v119
	v_add_co_ci_u32_e64 v99, s0, 0, v122, s0
	v_lshl_add_u32 v100, v123, 4, 0
	v_lshl_add_u32 v101, v124, 4, 0
	;; [unrolled: 1-line block ×4, first 2 shown]
	ds_store_b128 v252, v[16:19]
	ds_store_b128 v252, v[0:3] offset:832
	ds_store_b128 v252, v[4:7] offset:4992
	;; [unrolled: 1-line block ×23, first 2 shown]
	v_add_co_u32 v20, s0, 0x2000, v119
	s_waitcnt lgkmcnt(0)
	s_barrier
	buffer_gl0_inv
	s_clause 0x1
	global_load_b128 v[0:3], v[96:97], off offset:864
	global_load_b128 v[4:7], v[98:99], off offset:1696
	v_add_co_ci_u32_e64 v21, s0, 0, v122, s0
	s_clause 0x3
	global_load_b128 v[8:11], v[98:99], off offset:2528
	global_load_b128 v[12:15], v[98:99], off offset:3360
	;; [unrolled: 1-line block ×4, first 2 shown]
	ds_load_b128 v[26:29], v252 offset:9984
	ds_load_b128 v[30:33], v252 offset:10816
	;; [unrolled: 1-line block ×12, first 2 shown]
	ds_load_b128 v[74:77], v252
	ds_load_b128 v[78:81], v252 offset:832
	s_waitcnt vmcnt(5) lgkmcnt(13)
	v_mul_f64 v[82:83], v[28:29], v[2:3]
	v_mul_f64 v[84:85], v[26:27], v[2:3]
	s_waitcnt vmcnt(4) lgkmcnt(12)
	v_mul_f64 v[86:87], v[32:33], v[6:7]
	v_mul_f64 v[88:89], v[30:31], v[6:7]
	;; [unrolled: 3-line block ×6, first 2 shown]
	s_waitcnt lgkmcnt(7)
	v_mul_f64 v[106:107], v[52:53], v[2:3]
	v_mul_f64 v[2:3], v[50:51], v[2:3]
	s_waitcnt lgkmcnt(6)
	v_mul_f64 v[108:109], v[56:57], v[6:7]
	v_mul_f64 v[6:7], v[54:55], v[6:7]
	s_waitcnt lgkmcnt(5)
	v_mul_f64 v[110:111], v[60:61], v[10:11]
	v_mul_f64 v[10:11], v[58:59], v[10:11]
	s_waitcnt lgkmcnt(4)
	v_mul_f64 v[114:115], v[64:65], v[14:15]
	v_mul_f64 v[14:15], v[62:63], v[14:15]
	s_waitcnt lgkmcnt(3)
	v_mul_f64 v[123:124], v[68:69], v[18:19]
	v_mul_f64 v[18:19], v[66:67], v[18:19]
	s_waitcnt lgkmcnt(2)
	v_mul_f64 v[126:127], v[72:73], v[24:25]
	v_mul_f64 v[128:129], v[70:71], v[24:25]
	v_fma_f64 v[82:83], v[26:27], v[0:1], v[82:83]
	v_fma_f64 v[84:85], v[28:29], v[0:1], -v[84:85]
	v_fma_f64 v[86:87], v[30:31], v[4:5], v[86:87]
	v_fma_f64 v[88:89], v[32:33], v[4:5], -v[88:89]
	v_fma_f64 v[90:91], v[34:35], v[8:9], v[90:91]
	v_fma_f64 v[92:93], v[36:37], v[8:9], -v[92:93]
	v_fma_f64 v[94:95], v[38:39], v[12:13], v[94:95]
	v_fma_f64 v[96:97], v[40:41], v[12:13], -v[96:97]
	v_fma_f64 v[98:99], v[42:43], v[16:17], v[98:99]
	v_fma_f64 v[100:101], v[44:45], v[16:17], -v[100:101]
	v_fma_f64 v[102:103], v[46:47], v[22:23], v[102:103]
	v_fma_f64 v[104:105], v[48:49], v[22:23], -v[104:105]
	v_fma_f64 v[106:107], v[50:51], v[0:1], v[106:107]
	v_fma_f64 v[130:131], v[52:53], v[0:1], -v[2:3]
	v_fma_f64 v[108:109], v[54:55], v[4:5], v[108:109]
	v_fma_f64 v[132:133], v[56:57], v[4:5], -v[6:7]
	v_fma_f64 v[110:111], v[58:59], v[8:9], v[110:111]
	v_fma_f64 v[134:135], v[60:61], v[8:9], -v[10:11]
	v_fma_f64 v[114:115], v[62:63], v[12:13], v[114:115]
	v_fma_f64 v[136:137], v[64:65], v[12:13], -v[14:15]
	v_fma_f64 v[123:124], v[66:67], v[16:17], v[123:124]
	v_fma_f64 v[138:139], v[68:69], v[16:17], -v[18:19]
	v_fma_f64 v[126:127], v[70:71], v[22:23], v[126:127]
	v_fma_f64 v[22:23], v[72:73], v[22:23], -v[128:129]
	ds_load_b128 v[24:27], v252 offset:1664
	ds_load_b128 v[28:31], v252 offset:2496
	;; [unrolled: 1-line block ×10, first 2 shown]
	s_waitcnt lgkmcnt(0)
	s_barrier
	buffer_gl0_inv
	v_add_f64 v[0:1], v[74:75], -v[82:83]
	v_add_f64 v[2:3], v[76:77], -v[84:85]
	;; [unrolled: 1-line block ×24, first 2 shown]
	v_fma_f64 v[72:73], v[74:75], 2.0, -v[0:1]
	v_fma_f64 v[74:75], v[76:77], 2.0, -v[2:3]
	v_fma_f64 v[76:77], v[78:79], 2.0, -v[4:5]
	v_fma_f64 v[78:79], v[80:81], 2.0, -v[6:7]
	v_fma_f64 v[22:23], v[24:25], 2.0, -v[8:9]
	v_fma_f64 v[24:25], v[26:27], 2.0, -v[10:11]
	v_fma_f64 v[26:27], v[28:29], 2.0, -v[12:13]
	v_fma_f64 v[28:29], v[30:31], 2.0, -v[14:15]
	v_fma_f64 v[30:31], v[32:33], 2.0, -v[16:17]
	v_fma_f64 v[32:33], v[34:35], 2.0, -v[18:19]
	v_fma_f64 v[34:35], v[36:37], 2.0, -v[64:65]
	v_fma_f64 v[36:37], v[38:39], 2.0, -v[66:67]
	v_fma_f64 v[38:39], v[40:41], 2.0, -v[68:69]
	v_fma_f64 v[40:41], v[42:43], 2.0, -v[70:71]
	v_fma_f64 v[42:43], v[44:45], 2.0, -v[82:83]
	v_fma_f64 v[44:45], v[46:47], 2.0, -v[84:85]
	v_fma_f64 v[46:47], v[48:49], 2.0, -v[86:87]
	v_fma_f64 v[48:49], v[50:51], 2.0, -v[88:89]
	v_fma_f64 v[50:51], v[52:53], 2.0, -v[90:91]
	v_fma_f64 v[52:53], v[54:55], 2.0, -v[92:93]
	v_fma_f64 v[54:55], v[56:57], 2.0, -v[94:95]
	v_fma_f64 v[56:57], v[58:59], 2.0, -v[96:97]
	v_fma_f64 v[58:59], v[60:61], 2.0, -v[98:99]
	v_fma_f64 v[60:61], v[62:63], 2.0, -v[100:101]
	v_add_co_u32 v62, s0, 0x2000, v112
	s_delay_alu instid0(VALU_DEP_1) | instskip(SKIP_1) | instid1(VALU_DEP_1)
	v_add_co_ci_u32_e64 v63, s0, 0, v113, s0
	v_add_co_u32 v80, s0, 0x3000, v119
	v_add_co_ci_u32_e64 v81, s0, 0, v122, s0
	ds_store_b128 v252, v[0:3] offset:4992
	ds_store_b128 v252, v[4:7] offset:5824
	;; [unrolled: 1-line block ×12, first 2 shown]
	ds_store_b128 v252, v[72:75]
	ds_store_b128 v252, v[76:79] offset:832
	ds_store_b128 v252, v[22:25] offset:1664
	;; [unrolled: 1-line block ×11, first 2 shown]
	s_waitcnt lgkmcnt(0)
	s_barrier
	buffer_gl0_inv
	s_clause 0x5
	global_load_b128 v[0:3], v[62:63], off offset:1760
	global_load_b128 v[4:7], v[20:21], off offset:2592
	;; [unrolled: 1-line block ×6, first 2 shown]
	v_add_co_u32 v44, s0, 0x4000, v119
	s_delay_alu instid0(VALU_DEP_1)
	v_add_co_ci_u32_e64 v45, s0, 0, v122, s0
	s_clause 0x5
	global_load_b128 v[24:27], v[80:81], off offset:2656
	global_load_b128 v[28:31], v[80:81], off offset:3488
	;; [unrolled: 1-line block ×6, first 2 shown]
	ds_load_b128 v[48:51], v252 offset:9984
	ds_load_b128 v[52:55], v252 offset:10816
	;; [unrolled: 1-line block ×12, first 2 shown]
	ds_load_b128 v[96:99], v252
	ds_load_b128 v[100:103], v252 offset:832
	s_waitcnt vmcnt(11) lgkmcnt(13)
	v_mul_f64 v[104:105], v[50:51], v[2:3]
	v_mul_f64 v[2:3], v[48:49], v[2:3]
	s_waitcnt vmcnt(10) lgkmcnt(12)
	v_mul_f64 v[106:107], v[54:55], v[6:7]
	v_mul_f64 v[6:7], v[52:53], v[6:7]
	;; [unrolled: 3-line block ×12, first 2 shown]
	v_fma_f64 v[48:49], v[48:49], v[0:1], v[104:105]
	v_fma_f64 v[50:51], v[50:51], v[0:1], -v[2:3]
	v_fma_f64 v[52:53], v[52:53], v[4:5], v[106:107]
	v_fma_f64 v[54:55], v[54:55], v[4:5], -v[6:7]
	;; [unrolled: 2-line block ×12, first 2 shown]
	ds_load_b128 v[0:3], v252 offset:1664
	ds_load_b128 v[4:7], v252 offset:2496
	;; [unrolled: 1-line block ×10, first 2 shown]
	s_waitcnt lgkmcnt(0)
	s_barrier
	buffer_gl0_inv
	v_add_f64 v[40:41], v[96:97], -v[48:49]
	v_add_f64 v[42:43], v[98:99], -v[50:51]
	v_add_f64 v[44:45], v[100:101], -v[52:53]
	v_add_f64 v[46:47], v[102:103], -v[54:55]
	v_add_f64 v[48:49], v[0:1], -v[56:57]
	v_add_f64 v[50:51], v[2:3], -v[58:59]
	v_add_f64 v[52:53], v[4:5], -v[60:61]
	v_add_f64 v[54:55], v[6:7], -v[62:63]
	v_add_f64 v[56:57], v[8:9], -v[64:65]
	v_add_f64 v[58:59], v[10:11], -v[66:67]
	v_add_f64 v[60:61], v[12:13], -v[68:69]
	v_add_f64 v[62:63], v[14:15], -v[70:71]
	v_add_f64 v[64:65], v[16:17], -v[72:73]
	v_add_f64 v[66:67], v[18:19], -v[74:75]
	v_add_f64 v[68:69], v[20:21], -v[76:77]
	v_add_f64 v[70:71], v[22:23], -v[78:79]
	v_add_f64 v[72:73], v[24:25], -v[80:81]
	v_add_f64 v[74:75], v[26:27], -v[82:83]
	v_add_f64 v[76:77], v[28:29], -v[84:85]
	v_add_f64 v[78:79], v[30:31], -v[86:87]
	v_add_f64 v[80:81], v[32:33], -v[88:89]
	v_add_f64 v[82:83], v[34:35], -v[90:91]
	v_add_f64 v[84:85], v[36:37], -v[92:93]
	v_add_f64 v[86:87], v[38:39], -v[94:95]
	v_fma_f64 v[88:89], v[96:97], 2.0, -v[40:41]
	v_fma_f64 v[90:91], v[98:99], 2.0, -v[42:43]
	;; [unrolled: 1-line block ×24, first 2 shown]
	ds_store_b128 v252, v[40:43] offset:9984
	ds_store_b128 v252, v[44:47] offset:10816
	;; [unrolled: 1-line block ×12, first 2 shown]
	ds_store_b128 v252, v[88:91]
	ds_store_b128 v252, v[92:95] offset:832
	ds_store_b128 v252, v[0:3] offset:1664
	;; [unrolled: 1-line block ×11, first 2 shown]
	s_waitcnt lgkmcnt(0)
	s_barrier
	buffer_gl0_inv
	s_and_saveexec_b32 s0, vcc_lo
	s_cbranch_execz .LBB0_25
; %bb.24:
	v_mul_lo_u32 v2, s3, v120
	v_mul_lo_u32 v3, s2, v121
	v_mad_u64_u32 v[0:1], null, s2, v120, 0
	v_lshl_add_u32 v34, v118, 4, 0
	v_dual_mov_b32 v119, v125 :: v_dual_add_nc_u32 v124, 52, v118
	v_lshlrev_b64 v[8:9], 4, v[116:117]
	s_delay_alu instid0(VALU_DEP_4) | instskip(NEXT) | instid1(VALU_DEP_3)
	v_add3_u32 v1, v1, v3, v2
	v_lshlrev_b64 v[12:13], 4, v[118:119]
	s_delay_alu instid0(VALU_DEP_2)
	v_lshlrev_b64 v[10:11], 4, v[0:1]
	ds_load_b128 v[0:3], v34
	ds_load_b128 v[4:7], v34 offset:832
	v_add_co_u32 v14, vcc_lo, s6, v10
	v_add_co_ci_u32_e32 v15, vcc_lo, s7, v11, vcc_lo
	v_lshlrev_b64 v[10:11], 4, v[124:125]
	s_delay_alu instid0(VALU_DEP_3) | instskip(NEXT) | instid1(VALU_DEP_3)
	v_add_co_u32 v36, vcc_lo, v14, v8
	v_add_co_ci_u32_e32 v37, vcc_lo, v15, v9, vcc_lo
	v_add_nc_u32_e32 v124, 0x68, v118
	s_delay_alu instid0(VALU_DEP_3) | instskip(NEXT) | instid1(VALU_DEP_3)
	v_add_co_u32 v8, vcc_lo, v36, v12
	v_add_co_ci_u32_e32 v9, vcc_lo, v37, v13, vcc_lo
	s_delay_alu instid0(VALU_DEP_3) | instskip(SKIP_3) | instid1(VALU_DEP_4)
	v_lshlrev_b64 v[12:13], 4, v[124:125]
	v_add_co_u32 v10, vcc_lo, v36, v10
	v_add_co_ci_u32_e32 v11, vcc_lo, v37, v11, vcc_lo
	v_add_nc_u32_e32 v124, 0x9c, v118
	v_add_co_u32 v18, vcc_lo, v36, v12
	s_waitcnt lgkmcnt(1)
	global_store_b128 v[8:9], v[0:3], off
	s_waitcnt lgkmcnt(0)
	global_store_b128 v[10:11], v[4:7], off
	v_add_co_ci_u32_e32 v19, vcc_lo, v37, v13, vcc_lo
	v_lshlrev_b64 v[16:17], 4, v[124:125]
	v_add_nc_u32_e32 v124, 0xd0, v118
	ds_load_b128 v[0:3], v34 offset:1664
	ds_load_b128 v[4:7], v34 offset:2496
	;; [unrolled: 1-line block ×4, first 2 shown]
	v_lshlrev_b64 v[20:21], 4, v[124:125]
	v_add_nc_u32_e32 v124, 0x104, v118
	v_add_co_u32 v16, vcc_lo, v36, v16
	v_add_co_ci_u32_e32 v17, vcc_lo, v37, v17, vcc_lo
	s_delay_alu instid0(VALU_DEP_3) | instskip(SKIP_3) | instid1(VALU_DEP_4)
	v_lshlrev_b64 v[22:23], 4, v[124:125]
	v_add_nc_u32_e32 v124, 0x138, v118
	v_add_co_u32 v20, vcc_lo, v36, v20
	v_add_co_ci_u32_e32 v21, vcc_lo, v37, v21, vcc_lo
	v_add_co_u32 v22, vcc_lo, v36, v22
	s_delay_alu instid0(VALU_DEP_4)
	v_lshlrev_b64 v[24:25], 4, v[124:125]
	v_add_nc_u32_e32 v124, 0x16c, v118
	v_add_co_ci_u32_e32 v23, vcc_lo, v37, v23, vcc_lo
	s_waitcnt lgkmcnt(3)
	global_store_b128 v[18:19], v[0:3], off
	s_waitcnt lgkmcnt(2)
	global_store_b128 v[16:17], v[4:7], off
	s_waitcnt lgkmcnt(1)
	global_store_b128 v[20:21], v[8:11], off
	s_waitcnt lgkmcnt(0)
	global_store_b128 v[22:23], v[12:15], off
	ds_load_b128 v[0:3], v34 offset:4992
	ds_load_b128 v[4:7], v34 offset:5824
	v_lshlrev_b64 v[16:17], 4, v[124:125]
	v_add_nc_u32_e32 v124, 0x1a0, v118
	ds_load_b128 v[8:11], v34 offset:6656
	ds_load_b128 v[12:15], v34 offset:7488
	v_add_co_u32 v18, vcc_lo, v36, v24
	v_add_co_ci_u32_e32 v19, vcc_lo, v37, v25, vcc_lo
	v_lshlrev_b64 v[20:21], 4, v[124:125]
	v_add_nc_u32_e32 v124, 0x1d4, v118
	v_add_co_u32 v16, vcc_lo, v36, v16
	v_add_co_ci_u32_e32 v17, vcc_lo, v37, v17, vcc_lo
	s_delay_alu instid0(VALU_DEP_3) | instskip(SKIP_3) | instid1(VALU_DEP_4)
	v_lshlrev_b64 v[22:23], 4, v[124:125]
	v_add_nc_u32_e32 v124, 0x208, v118
	v_add_co_u32 v20, vcc_lo, v36, v20
	v_add_co_ci_u32_e32 v21, vcc_lo, v37, v21, vcc_lo
	v_add_co_u32 v22, vcc_lo, v36, v22
	s_delay_alu instid0(VALU_DEP_4)
	v_lshlrev_b64 v[24:25], 4, v[124:125]
	v_add_nc_u32_e32 v124, 0x23c, v118
	v_add_co_ci_u32_e32 v23, vcc_lo, v37, v23, vcc_lo
	s_waitcnt lgkmcnt(3)
	global_store_b128 v[18:19], v[0:3], off
	s_waitcnt lgkmcnt(2)
	global_store_b128 v[16:17], v[4:7], off
	s_waitcnt lgkmcnt(1)
	global_store_b128 v[20:21], v[8:11], off
	s_waitcnt lgkmcnt(0)
	global_store_b128 v[22:23], v[12:15], off
	ds_load_b128 v[0:3], v34 offset:8320
	ds_load_b128 v[4:7], v34 offset:9152
	v_lshlrev_b64 v[16:17], 4, v[124:125]
	v_add_nc_u32_e32 v124, 0x270, v118
	ds_load_b128 v[8:11], v34 offset:9984
	ds_load_b128 v[12:15], v34 offset:10816
	v_add_co_u32 v18, vcc_lo, v36, v24
	v_add_co_ci_u32_e32 v19, vcc_lo, v37, v25, vcc_lo
	v_lshlrev_b64 v[20:21], 4, v[124:125]
	v_add_nc_u32_e32 v124, 0x2a4, v118
	v_add_co_u32 v16, vcc_lo, v36, v16
	v_add_co_ci_u32_e32 v17, vcc_lo, v37, v17, vcc_lo
	s_delay_alu instid0(VALU_DEP_3) | instskip(SKIP_3) | instid1(VALU_DEP_4)
	v_lshlrev_b64 v[22:23], 4, v[124:125]
	v_add_nc_u32_e32 v124, 0x2d8, v118
	v_add_co_u32 v20, vcc_lo, v36, v20
	v_add_co_ci_u32_e32 v21, vcc_lo, v37, v21, vcc_lo
	v_add_co_u32 v22, vcc_lo, v36, v22
	s_delay_alu instid0(VALU_DEP_4)
	v_lshlrev_b64 v[24:25], 4, v[124:125]
	v_add_nc_u32_e32 v124, 0x30c, v118
	v_add_co_ci_u32_e32 v23, vcc_lo, v37, v23, vcc_lo
	s_waitcnt lgkmcnt(3)
	global_store_b128 v[18:19], v[0:3], off
	s_waitcnt lgkmcnt(2)
	global_store_b128 v[16:17], v[4:7], off
	s_waitcnt lgkmcnt(1)
	global_store_b128 v[20:21], v[8:11], off
	s_waitcnt lgkmcnt(0)
	global_store_b128 v[22:23], v[12:15], off
	ds_load_b128 v[0:3], v34 offset:11648
	ds_load_b128 v[4:7], v34 offset:12480
	v_lshlrev_b64 v[16:17], 4, v[124:125]
	v_add_nc_u32_e32 v124, 0x340, v118
	ds_load_b128 v[8:11], v34 offset:13312
	ds_load_b128 v[12:15], v34 offset:14144
	v_add_co_u32 v18, vcc_lo, v36, v24
	v_add_co_ci_u32_e32 v19, vcc_lo, v37, v25, vcc_lo
	v_lshlrev_b64 v[20:21], 4, v[124:125]
	v_add_nc_u32_e32 v124, 0x374, v118
	v_add_co_u32 v16, vcc_lo, v36, v16
	v_add_co_ci_u32_e32 v17, vcc_lo, v37, v17, vcc_lo
	s_delay_alu instid0(VALU_DEP_3) | instskip(SKIP_3) | instid1(VALU_DEP_3)
	v_lshlrev_b64 v[22:23], 4, v[124:125]
	v_add_nc_u32_e32 v124, 0x3a8, v118
	v_add_co_u32 v20, vcc_lo, v36, v20
	v_add_co_ci_u32_e32 v21, vcc_lo, v37, v21, vcc_lo
	v_lshlrev_b64 v[24:25], 4, v[124:125]
	v_add_nc_u32_e32 v124, 0x3dc, v118
	v_add_co_u32 v22, vcc_lo, v36, v22
	v_add_co_ci_u32_e32 v23, vcc_lo, v37, v23, vcc_lo
	s_waitcnt lgkmcnt(3)
	global_store_b128 v[18:19], v[0:3], off
	s_waitcnt lgkmcnt(2)
	global_store_b128 v[16:17], v[4:7], off
	;; [unrolled: 2-line block ×4, first 2 shown]
	v_lshlrev_b64 v[8:9], 4, v[124:125]
	v_add_nc_u32_e32 v124, 0x410, v118
	v_add_co_u32 v24, vcc_lo, v36, v24
	v_add_co_ci_u32_e32 v25, vcc_lo, v37, v25, vcc_lo
	s_delay_alu instid0(VALU_DEP_3) | instskip(SKIP_3) | instid1(VALU_DEP_4)
	v_lshlrev_b64 v[10:11], 4, v[124:125]
	v_add_co_u32 v26, vcc_lo, v36, v8
	v_add_nc_u32_e32 v124, 0x444, v118
	v_add_co_ci_u32_e32 v27, vcc_lo, v37, v9, vcc_lo
	v_add_co_u32 v30, vcc_lo, v36, v10
	ds_load_b128 v[0:3], v34 offset:14976
	ds_load_b128 v[4:7], v34 offset:15808
	v_add_co_ci_u32_e32 v31, vcc_lo, v37, v11, vcc_lo
	ds_load_b128 v[8:11], v34 offset:16640
	ds_load_b128 v[12:15], v34 offset:17472
	;; [unrolled: 1-line block ×4, first 2 shown]
	v_lshlrev_b64 v[28:29], 4, v[124:125]
	v_add_nc_u32_e32 v124, 0x478, v118
	s_delay_alu instid0(VALU_DEP_1) | instskip(SKIP_1) | instid1(VALU_DEP_4)
	v_lshlrev_b64 v[32:33], 4, v[124:125]
	v_add_nc_u32_e32 v124, 0x4ac, v118
	v_add_co_u32 v28, vcc_lo, v36, v28
	v_add_co_ci_u32_e32 v29, vcc_lo, v37, v29, vcc_lo
	s_delay_alu instid0(VALU_DEP_3) | instskip(SKIP_2) | instid1(VALU_DEP_3)
	v_lshlrev_b64 v[34:35], 4, v[124:125]
	v_add_co_u32 v32, vcc_lo, v36, v32
	v_add_co_ci_u32_e32 v33, vcc_lo, v37, v33, vcc_lo
	v_add_co_u32 v34, vcc_lo, v36, v34
	s_delay_alu instid0(VALU_DEP_4)
	v_add_co_ci_u32_e32 v35, vcc_lo, v37, v35, vcc_lo
	s_waitcnt lgkmcnt(5)
	global_store_b128 v[24:25], v[0:3], off
	s_waitcnt lgkmcnt(4)
	global_store_b128 v[26:27], v[4:7], off
	;; [unrolled: 2-line block ×6, first 2 shown]
.LBB0_25:
	s_nop 0
	s_sendmsg sendmsg(MSG_DEALLOC_VGPRS)
	s_endpgm
	.section	.rodata,"a",@progbits
	.p2align	6, 0x0
	.amdhsa_kernel fft_rtc_back_len1248_factors_2_2_13_2_3_2_2_wgs_52_tpt_52_halfLds_dp_op_CI_CI_unitstride_sbrr_C2R_dirReg
		.amdhsa_group_segment_fixed_size 0
		.amdhsa_private_segment_fixed_size 316
		.amdhsa_kernarg_size 104
		.amdhsa_user_sgpr_count 15
		.amdhsa_user_sgpr_dispatch_ptr 0
		.amdhsa_user_sgpr_queue_ptr 0
		.amdhsa_user_sgpr_kernarg_segment_ptr 1
		.amdhsa_user_sgpr_dispatch_id 0
		.amdhsa_user_sgpr_private_segment_size 0
		.amdhsa_wavefront_size32 1
		.amdhsa_uses_dynamic_stack 0
		.amdhsa_enable_private_segment 1
		.amdhsa_system_sgpr_workgroup_id_x 1
		.amdhsa_system_sgpr_workgroup_id_y 0
		.amdhsa_system_sgpr_workgroup_id_z 0
		.amdhsa_system_sgpr_workgroup_info 0
		.amdhsa_system_vgpr_workitem_id 0
		.amdhsa_next_free_vgpr 256
		.amdhsa_next_free_sgpr 46
		.amdhsa_reserve_vcc 1
		.amdhsa_float_round_mode_32 0
		.amdhsa_float_round_mode_16_64 0
		.amdhsa_float_denorm_mode_32 3
		.amdhsa_float_denorm_mode_16_64 3
		.amdhsa_dx10_clamp 1
		.amdhsa_ieee_mode 1
		.amdhsa_fp16_overflow 0
		.amdhsa_workgroup_processor_mode 1
		.amdhsa_memory_ordered 1
		.amdhsa_forward_progress 0
		.amdhsa_shared_vgpr_count 0
		.amdhsa_exception_fp_ieee_invalid_op 0
		.amdhsa_exception_fp_denorm_src 0
		.amdhsa_exception_fp_ieee_div_zero 0
		.amdhsa_exception_fp_ieee_overflow 0
		.amdhsa_exception_fp_ieee_underflow 0
		.amdhsa_exception_fp_ieee_inexact 0
		.amdhsa_exception_int_div_zero 0
	.end_amdhsa_kernel
	.text
.Lfunc_end0:
	.size	fft_rtc_back_len1248_factors_2_2_13_2_3_2_2_wgs_52_tpt_52_halfLds_dp_op_CI_CI_unitstride_sbrr_C2R_dirReg, .Lfunc_end0-fft_rtc_back_len1248_factors_2_2_13_2_3_2_2_wgs_52_tpt_52_halfLds_dp_op_CI_CI_unitstride_sbrr_C2R_dirReg
                                        ; -- End function
	.section	.AMDGPU.csdata,"",@progbits
; Kernel info:
; codeLenInByte = 25172
; NumSgprs: 48
; NumVgprs: 256
; ScratchSize: 316
; MemoryBound: 0
; FloatMode: 240
; IeeeMode: 1
; LDSByteSize: 0 bytes/workgroup (compile time only)
; SGPRBlocks: 5
; VGPRBlocks: 31
; NumSGPRsForWavesPerEU: 48
; NumVGPRsForWavesPerEU: 256
; Occupancy: 5
; WaveLimiterHint : 1
; COMPUTE_PGM_RSRC2:SCRATCH_EN: 1
; COMPUTE_PGM_RSRC2:USER_SGPR: 15
; COMPUTE_PGM_RSRC2:TRAP_HANDLER: 0
; COMPUTE_PGM_RSRC2:TGID_X_EN: 1
; COMPUTE_PGM_RSRC2:TGID_Y_EN: 0
; COMPUTE_PGM_RSRC2:TGID_Z_EN: 0
; COMPUTE_PGM_RSRC2:TIDIG_COMP_CNT: 0
	.text
	.p2alignl 7, 3214868480
	.fill 96, 4, 3214868480
	.type	__hip_cuid_6b0ecaff639d4872,@object ; @__hip_cuid_6b0ecaff639d4872
	.section	.bss,"aw",@nobits
	.globl	__hip_cuid_6b0ecaff639d4872
__hip_cuid_6b0ecaff639d4872:
	.byte	0                               ; 0x0
	.size	__hip_cuid_6b0ecaff639d4872, 1

	.ident	"AMD clang version 19.0.0git (https://github.com/RadeonOpenCompute/llvm-project roc-6.4.0 25133 c7fe45cf4b819c5991fe208aaa96edf142730f1d)"
	.section	".note.GNU-stack","",@progbits
	.addrsig
	.addrsig_sym __hip_cuid_6b0ecaff639d4872
	.amdgpu_metadata
---
amdhsa.kernels:
  - .args:
      - .actual_access:  read_only
        .address_space:  global
        .offset:         0
        .size:           8
        .value_kind:     global_buffer
      - .offset:         8
        .size:           8
        .value_kind:     by_value
      - .actual_access:  read_only
        .address_space:  global
        .offset:         16
        .size:           8
        .value_kind:     global_buffer
      - .actual_access:  read_only
        .address_space:  global
        .offset:         24
        .size:           8
        .value_kind:     global_buffer
      - .actual_access:  read_only
        .address_space:  global
        .offset:         32
        .size:           8
        .value_kind:     global_buffer
      - .offset:         40
        .size:           8
        .value_kind:     by_value
      - .actual_access:  read_only
        .address_space:  global
        .offset:         48
        .size:           8
        .value_kind:     global_buffer
      - .actual_access:  read_only
        .address_space:  global
        .offset:         56
        .size:           8
        .value_kind:     global_buffer
      - .offset:         64
        .size:           4
        .value_kind:     by_value
      - .actual_access:  read_only
        .address_space:  global
        .offset:         72
        .size:           8
        .value_kind:     global_buffer
      - .actual_access:  read_only
        .address_space:  global
        .offset:         80
        .size:           8
        .value_kind:     global_buffer
      - .actual_access:  read_only
        .address_space:  global
        .offset:         88
        .size:           8
        .value_kind:     global_buffer
      - .actual_access:  write_only
        .address_space:  global
        .offset:         96
        .size:           8
        .value_kind:     global_buffer
    .group_segment_fixed_size: 0
    .kernarg_segment_align: 8
    .kernarg_segment_size: 104
    .language:       OpenCL C
    .language_version:
      - 2
      - 0
    .max_flat_workgroup_size: 52
    .name:           fft_rtc_back_len1248_factors_2_2_13_2_3_2_2_wgs_52_tpt_52_halfLds_dp_op_CI_CI_unitstride_sbrr_C2R_dirReg
    .private_segment_fixed_size: 316
    .sgpr_count:     48
    .sgpr_spill_count: 0
    .symbol:         fft_rtc_back_len1248_factors_2_2_13_2_3_2_2_wgs_52_tpt_52_halfLds_dp_op_CI_CI_unitstride_sbrr_C2R_dirReg.kd
    .uniform_work_group_size: 1
    .uses_dynamic_stack: false
    .vgpr_count:     256
    .vgpr_spill_count: 106
    .wavefront_size: 32
    .workgroup_processor_mode: 1
amdhsa.target:   amdgcn-amd-amdhsa--gfx1100
amdhsa.version:
  - 1
  - 2
...

	.end_amdgpu_metadata
